;; amdgpu-corpus repo=ROCm/rocFFT kind=compiled arch=gfx1030 opt=O3
	.text
	.amdgcn_target "amdgcn-amd-amdhsa--gfx1030"
	.amdhsa_code_object_version 6
	.protected	fft_rtc_fwd_len1440_factors_10_16_3_3_wgs_90_tpt_90_halfLds_dp_ip_CI_unitstride_sbrr_R2C_dirReg ; -- Begin function fft_rtc_fwd_len1440_factors_10_16_3_3_wgs_90_tpt_90_halfLds_dp_ip_CI_unitstride_sbrr_R2C_dirReg
	.globl	fft_rtc_fwd_len1440_factors_10_16_3_3_wgs_90_tpt_90_halfLds_dp_ip_CI_unitstride_sbrr_R2C_dirReg
	.p2align	8
	.type	fft_rtc_fwd_len1440_factors_10_16_3_3_wgs_90_tpt_90_halfLds_dp_ip_CI_unitstride_sbrr_R2C_dirReg,@function
fft_rtc_fwd_len1440_factors_10_16_3_3_wgs_90_tpt_90_halfLds_dp_ip_CI_unitstride_sbrr_R2C_dirReg: ; @fft_rtc_fwd_len1440_factors_10_16_3_3_wgs_90_tpt_90_halfLds_dp_ip_CI_unitstride_sbrr_R2C_dirReg
; %bb.0:
	s_clause 0x2
	s_load_dwordx4 s[8:11], s[4:5], 0x0
	s_load_dwordx2 s[2:3], s[4:5], 0x50
	s_load_dwordx2 s[12:13], s[4:5], 0x18
	v_mul_u32_u24_e32 v1, 0x2d9, v0
	v_mov_b32_e32 v3, 0
	v_add_nc_u32_sdwa v5, s6, v1 dst_sel:DWORD dst_unused:UNUSED_PAD src0_sel:DWORD src1_sel:WORD_1
	v_mov_b32_e32 v1, 0
	v_mov_b32_e32 v6, v3
	v_mov_b32_e32 v2, 0
	s_waitcnt lgkmcnt(0)
	v_cmp_lt_u64_e64 s0, s[10:11], 2
	s_and_b32 vcc_lo, exec_lo, s0
	s_cbranch_vccnz .LBB0_8
; %bb.1:
	s_load_dwordx2 s[0:1], s[4:5], 0x10
	v_mov_b32_e32 v1, 0
	s_add_u32 s6, s12, 8
	v_mov_b32_e32 v2, 0
	s_addc_u32 s7, s13, 0
	s_mov_b64 s[16:17], 1
	s_waitcnt lgkmcnt(0)
	s_add_u32 s14, s0, 8
	s_addc_u32 s15, s1, 0
.LBB0_2:                                ; =>This Inner Loop Header: Depth=1
	s_load_dwordx2 s[18:19], s[14:15], 0x0
                                        ; implicit-def: $vgpr7_vgpr8
	s_mov_b32 s0, exec_lo
	s_waitcnt lgkmcnt(0)
	v_or_b32_e32 v4, s19, v6
	v_cmpx_ne_u64_e32 0, v[3:4]
	s_xor_b32 s1, exec_lo, s0
	s_cbranch_execz .LBB0_4
; %bb.3:                                ;   in Loop: Header=BB0_2 Depth=1
	v_cvt_f32_u32_e32 v4, s18
	v_cvt_f32_u32_e32 v7, s19
	s_sub_u32 s0, 0, s18
	s_subb_u32 s20, 0, s19
	v_fmac_f32_e32 v4, 0x4f800000, v7
	v_rcp_f32_e32 v4, v4
	v_mul_f32_e32 v4, 0x5f7ffffc, v4
	v_mul_f32_e32 v7, 0x2f800000, v4
	v_trunc_f32_e32 v7, v7
	v_fmac_f32_e32 v4, 0xcf800000, v7
	v_cvt_u32_f32_e32 v7, v7
	v_cvt_u32_f32_e32 v4, v4
	v_mul_lo_u32 v8, s0, v7
	v_mul_hi_u32 v9, s0, v4
	v_mul_lo_u32 v10, s20, v4
	v_add_nc_u32_e32 v8, v9, v8
	v_mul_lo_u32 v9, s0, v4
	v_add_nc_u32_e32 v8, v8, v10
	v_mul_hi_u32 v10, v4, v9
	v_mul_lo_u32 v11, v4, v8
	v_mul_hi_u32 v12, v4, v8
	v_mul_hi_u32 v13, v7, v9
	v_mul_lo_u32 v9, v7, v9
	v_mul_hi_u32 v14, v7, v8
	v_mul_lo_u32 v8, v7, v8
	v_add_co_u32 v10, vcc_lo, v10, v11
	v_add_co_ci_u32_e32 v11, vcc_lo, 0, v12, vcc_lo
	v_add_co_u32 v9, vcc_lo, v10, v9
	v_add_co_ci_u32_e32 v9, vcc_lo, v11, v13, vcc_lo
	v_add_co_ci_u32_e32 v10, vcc_lo, 0, v14, vcc_lo
	v_add_co_u32 v8, vcc_lo, v9, v8
	v_add_co_ci_u32_e32 v9, vcc_lo, 0, v10, vcc_lo
	v_add_co_u32 v4, vcc_lo, v4, v8
	v_add_co_ci_u32_e32 v7, vcc_lo, v7, v9, vcc_lo
	v_mul_hi_u32 v8, s0, v4
	v_mul_lo_u32 v10, s20, v4
	v_mul_lo_u32 v9, s0, v7
	v_add_nc_u32_e32 v8, v8, v9
	v_mul_lo_u32 v9, s0, v4
	v_add_nc_u32_e32 v8, v8, v10
	v_mul_hi_u32 v10, v4, v9
	v_mul_lo_u32 v11, v4, v8
	v_mul_hi_u32 v12, v4, v8
	v_mul_hi_u32 v13, v7, v9
	v_mul_lo_u32 v9, v7, v9
	v_mul_hi_u32 v14, v7, v8
	v_mul_lo_u32 v8, v7, v8
	v_add_co_u32 v10, vcc_lo, v10, v11
	v_add_co_ci_u32_e32 v11, vcc_lo, 0, v12, vcc_lo
	v_add_co_u32 v9, vcc_lo, v10, v9
	v_add_co_ci_u32_e32 v9, vcc_lo, v11, v13, vcc_lo
	v_add_co_ci_u32_e32 v10, vcc_lo, 0, v14, vcc_lo
	v_add_co_u32 v8, vcc_lo, v9, v8
	v_add_co_ci_u32_e32 v9, vcc_lo, 0, v10, vcc_lo
	v_add_co_u32 v4, vcc_lo, v4, v8
	v_add_co_ci_u32_e32 v11, vcc_lo, v7, v9, vcc_lo
	v_mul_hi_u32 v13, v5, v4
	v_mad_u64_u32 v[9:10], null, v6, v4, 0
	v_mad_u64_u32 v[7:8], null, v5, v11, 0
	;; [unrolled: 1-line block ×3, first 2 shown]
	v_add_co_u32 v4, vcc_lo, v13, v7
	v_add_co_ci_u32_e32 v7, vcc_lo, 0, v8, vcc_lo
	v_add_co_u32 v4, vcc_lo, v4, v9
	v_add_co_ci_u32_e32 v4, vcc_lo, v7, v10, vcc_lo
	v_add_co_ci_u32_e32 v7, vcc_lo, 0, v12, vcc_lo
	v_add_co_u32 v4, vcc_lo, v4, v11
	v_add_co_ci_u32_e32 v9, vcc_lo, 0, v7, vcc_lo
	v_mul_lo_u32 v10, s19, v4
	v_mad_u64_u32 v[7:8], null, s18, v4, 0
	v_mul_lo_u32 v11, s18, v9
	v_sub_co_u32 v7, vcc_lo, v5, v7
	v_add3_u32 v8, v8, v11, v10
	v_sub_nc_u32_e32 v10, v6, v8
	v_subrev_co_ci_u32_e64 v10, s0, s19, v10, vcc_lo
	v_add_co_u32 v11, s0, v4, 2
	v_add_co_ci_u32_e64 v12, s0, 0, v9, s0
	v_sub_co_u32 v13, s0, v7, s18
	v_sub_co_ci_u32_e32 v8, vcc_lo, v6, v8, vcc_lo
	v_subrev_co_ci_u32_e64 v10, s0, 0, v10, s0
	v_cmp_le_u32_e32 vcc_lo, s18, v13
	v_cmp_eq_u32_e64 s0, s19, v8
	v_cndmask_b32_e64 v13, 0, -1, vcc_lo
	v_cmp_le_u32_e32 vcc_lo, s19, v10
	v_cndmask_b32_e64 v14, 0, -1, vcc_lo
	v_cmp_le_u32_e32 vcc_lo, s18, v7
	;; [unrolled: 2-line block ×3, first 2 shown]
	v_cndmask_b32_e64 v15, 0, -1, vcc_lo
	v_cmp_eq_u32_e32 vcc_lo, s19, v10
	v_cndmask_b32_e64 v7, v15, v7, s0
	v_cndmask_b32_e32 v10, v14, v13, vcc_lo
	v_add_co_u32 v13, vcc_lo, v4, 1
	v_add_co_ci_u32_e32 v14, vcc_lo, 0, v9, vcc_lo
	v_cmp_ne_u32_e32 vcc_lo, 0, v10
	v_cndmask_b32_e32 v8, v14, v12, vcc_lo
	v_cndmask_b32_e32 v10, v13, v11, vcc_lo
	v_cmp_ne_u32_e32 vcc_lo, 0, v7
	v_cndmask_b32_e32 v8, v9, v8, vcc_lo
	v_cndmask_b32_e32 v7, v4, v10, vcc_lo
.LBB0_4:                                ;   in Loop: Header=BB0_2 Depth=1
	s_andn2_saveexec_b32 s0, s1
	s_cbranch_execz .LBB0_6
; %bb.5:                                ;   in Loop: Header=BB0_2 Depth=1
	v_cvt_f32_u32_e32 v4, s18
	s_sub_i32 s1, 0, s18
	v_rcp_iflag_f32_e32 v4, v4
	v_mul_f32_e32 v4, 0x4f7ffffe, v4
	v_cvt_u32_f32_e32 v4, v4
	v_mul_lo_u32 v7, s1, v4
	v_mul_hi_u32 v7, v4, v7
	v_add_nc_u32_e32 v4, v4, v7
	v_mul_hi_u32 v4, v5, v4
	v_mul_lo_u32 v7, v4, s18
	v_add_nc_u32_e32 v8, 1, v4
	v_sub_nc_u32_e32 v7, v5, v7
	v_subrev_nc_u32_e32 v9, s18, v7
	v_cmp_le_u32_e32 vcc_lo, s18, v7
	v_cndmask_b32_e32 v7, v7, v9, vcc_lo
	v_cndmask_b32_e32 v4, v4, v8, vcc_lo
	v_cmp_le_u32_e32 vcc_lo, s18, v7
	v_add_nc_u32_e32 v8, 1, v4
	v_cndmask_b32_e32 v7, v4, v8, vcc_lo
	v_mov_b32_e32 v8, v3
.LBB0_6:                                ;   in Loop: Header=BB0_2 Depth=1
	s_or_b32 exec_lo, exec_lo, s0
	s_load_dwordx2 s[0:1], s[6:7], 0x0
	v_mul_lo_u32 v4, v8, s18
	v_mul_lo_u32 v11, v7, s19
	v_mad_u64_u32 v[9:10], null, v7, s18, 0
	s_add_u32 s16, s16, 1
	s_addc_u32 s17, s17, 0
	s_add_u32 s6, s6, 8
	s_addc_u32 s7, s7, 0
	;; [unrolled: 2-line block ×3, first 2 shown]
	v_add3_u32 v4, v10, v11, v4
	v_sub_co_u32 v5, vcc_lo, v5, v9
	v_sub_co_ci_u32_e32 v4, vcc_lo, v6, v4, vcc_lo
	s_waitcnt lgkmcnt(0)
	v_mul_lo_u32 v6, s1, v5
	v_mul_lo_u32 v4, s0, v4
	v_mad_u64_u32 v[1:2], null, s0, v5, v[1:2]
	v_cmp_ge_u64_e64 s0, s[16:17], s[10:11]
	s_and_b32 vcc_lo, exec_lo, s0
	v_add3_u32 v2, v6, v2, v4
	s_cbranch_vccnz .LBB0_9
; %bb.7:                                ;   in Loop: Header=BB0_2 Depth=1
	v_mov_b32_e32 v5, v7
	v_mov_b32_e32 v6, v8
	s_branch .LBB0_2
.LBB0_8:
	v_mov_b32_e32 v8, v6
	v_mov_b32_e32 v7, v5
.LBB0_9:
	s_lshl_b64 s[0:1], s[10:11], 3
	v_mul_hi_u32 v3, 0x2d82d83, v0
	s_add_u32 s0, s12, s0
	s_addc_u32 s1, s13, s1
	s_load_dwordx2 s[0:1], s[0:1], 0x0
	s_load_dwordx2 s[4:5], s[4:5], 0x20
	v_mul_u32_u24_e32 v3, 0x5a, v3
	v_sub_nc_u32_e32 v72, v0, v3
	v_add_nc_u32_e32 v76, 0x5a, v72
	s_waitcnt lgkmcnt(0)
	v_mul_lo_u32 v4, s0, v8
	v_mul_lo_u32 v5, s1, v7
	v_mad_u64_u32 v[1:2], null, s0, v7, v[1:2]
	v_cmp_gt_u64_e32 vcc_lo, s[4:5], v[7:8]
	v_cmp_le_u64_e64 s0, s[4:5], v[7:8]
	v_add3_u32 v2, v5, v2, v4
	s_and_saveexec_b32 s1, s0
	s_xor_b32 s0, exec_lo, s1
; %bb.10:
	v_add_nc_u32_e32 v76, 0x5a, v72
; %bb.11:
	s_or_saveexec_b32 s1, s0
	v_lshlrev_b64 v[74:75], 4, v[1:2]
	v_lshl_add_u32 v117, v72, 4, 0
	s_xor_b32 exec_lo, exec_lo, s1
	s_cbranch_execz .LBB0_13
; %bb.12:
	v_mov_b32_e32 v73, 0
	v_add_co_u32 v2, s0, s2, v74
	v_add_co_ci_u32_e64 v3, s0, s3, v75, s0
	v_lshlrev_b64 v[0:1], 4, v[72:73]
	v_add_co_u32 v8, s0, v2, v0
	v_add_co_ci_u32_e64 v9, s0, v3, v1, s0
	s_clause 0x1
	global_load_dwordx4 v[0:3], v[8:9], off
	global_load_dwordx4 v[4:7], v[8:9], off offset:1440
	v_add_co_u32 v10, s0, 0x800, v8
	v_add_co_ci_u32_e64 v11, s0, 0, v9, s0
	v_add_co_u32 v16, s0, 0x1000, v8
	v_add_co_ci_u32_e64 v17, s0, 0, v9, s0
	;; [unrolled: 2-line block ×10, first 2 shown]
	s_clause 0xd
	global_load_dwordx4 v[8:11], v[10:11], off offset:832
	global_load_dwordx4 v[12:15], v[16:17], off offset:224
	;; [unrolled: 1-line block ×14, first 2 shown]
	s_waitcnt vmcnt(15)
	ds_write_b128 v117, v[0:3]
	s_waitcnt vmcnt(14)
	ds_write_b128 v117, v[4:7] offset:1440
	s_waitcnt vmcnt(13)
	ds_write_b128 v117, v[8:11] offset:2880
	s_waitcnt vmcnt(12)
	ds_write_b128 v117, v[12:15] offset:4320
	s_waitcnt vmcnt(11)
	ds_write_b128 v117, v[16:19] offset:5760
	s_waitcnt vmcnt(10)
	ds_write_b128 v117, v[20:23] offset:7200
	s_waitcnt vmcnt(9)
	ds_write_b128 v117, v[24:27] offset:8640
	s_waitcnt vmcnt(8)
	ds_write_b128 v117, v[28:31] offset:10080
	s_waitcnt vmcnt(7)
	ds_write_b128 v117, v[32:35] offset:11520
	s_waitcnt vmcnt(6)
	ds_write_b128 v117, v[36:39] offset:12960
	s_waitcnt vmcnt(5)
	ds_write_b128 v117, v[40:43] offset:14400
	s_waitcnt vmcnt(4)
	ds_write_b128 v117, v[44:47] offset:15840
	s_waitcnt vmcnt(3)
	ds_write_b128 v117, v[48:51] offset:17280
	s_waitcnt vmcnt(2)
	ds_write_b128 v117, v[52:55] offset:18720
	s_waitcnt vmcnt(1)
	ds_write_b128 v117, v[56:59] offset:20160
	s_waitcnt vmcnt(0)
	ds_write_b128 v117, v[60:63] offset:21600
.LBB0_13:
	s_or_b32 exec_lo, exec_lo, s1
	s_waitcnt lgkmcnt(0)
	s_barrier
	buffer_gl0_inv
	ds_read_b128 v[0:3], v117 offset:11520
	ds_read_b128 v[4:7], v117 offset:16128
	;; [unrolled: 1-line block ×5, first 2 shown]
	ds_read_b128 v[60:63], v117
	ds_read_b128 v[20:23], v117 offset:1440
	ds_read_b128 v[64:67], v117 offset:4608
	ds_read_b128 v[24:27], v117 offset:6048
	ds_read_b128 v[68:71], v117 offset:9216
	ds_read_b128 v[16:19], v117 offset:10656
	ds_read_b128 v[77:80], v117 offset:13824
	ds_read_b128 v[12:15], v117 offset:15264
	ds_read_b128 v[81:84], v117 offset:18432
	ds_read_b128 v[8:11], v117 offset:19872
	ds_read_b128 v[28:31], v117 offset:12960
	ds_read_b128 v[32:35], v117 offset:17568
	s_mov_b32 s4, 0x134454ff
	s_mov_b32 s5, 0x3fee6f0e
	;; [unrolled: 1-line block ×4, first 2 shown]
	s_waitcnt lgkmcnt(15)
	v_add_f64 v[85:86], v[0:1], v[4:5]
	v_add_f64 v[99:100], v[2:3], v[6:7]
	s_waitcnt lgkmcnt(13)
	v_add_f64 v[91:92], v[52:53], v[48:49]
	v_add_f64 v[93:94], v[54:55], v[50:51]
	s_waitcnt lgkmcnt(12)
	v_add_f64 v[95:96], v[50:51], v[58:59]
	v_add_f64 v[97:98], v[48:49], v[56:57]
	s_waitcnt lgkmcnt(9)
	v_add_f64 v[87:88], v[60:61], v[64:65]
	v_add_f64 v[89:90], v[62:63], v[66:67]
	v_add_f64 v[105:106], v[50:51], -v[58:59]
	v_add_f64 v[118:119], v[0:1], -v[4:5]
	s_waitcnt lgkmcnt(5)
	v_add_f64 v[101:102], v[68:69], v[77:78]
	v_add_f64 v[111:112], v[70:71], v[79:80]
	s_waitcnt lgkmcnt(3)
	v_add_f64 v[109:110], v[64:65], v[81:82]
	v_add_f64 v[113:114], v[66:67], v[83:84]
	v_add_f64 v[120:121], v[2:3], -v[6:7]
	v_add_f64 v[122:123], v[48:49], -v[0:1]
	;; [unrolled: 1-line block ×4, first 2 shown]
	s_mov_b32 s6, 0x4755a5e
	s_mov_b32 s7, 0x3fe2cf23
	;; [unrolled: 1-line block ×4, first 2 shown]
	v_fma_f64 v[85:86], v[85:86], -0.5, v[52:53]
	v_add_f64 v[103:104], v[70:71], -v[79:80]
	v_add_f64 v[0:1], v[91:92], v[0:1]
	v_add_f64 v[91:92], v[93:94], v[2:3]
	v_fma_f64 v[93:94], v[95:96], -0.5, v[54:55]
	v_fma_f64 v[52:53], v[97:98], -0.5, v[52:53]
	v_add_f64 v[87:88], v[87:88], v[68:69]
	v_add_f64 v[89:90], v[89:90], v[70:71]
	v_add_f64 v[97:98], v[56:57], -v[4:5]
	v_fma_f64 v[54:55], v[99:100], -0.5, v[54:55]
	v_add_f64 v[95:96], v[50:51], -v[2:3]
	v_add_f64 v[2:3], v[2:3], -v[50:51]
	v_add_f64 v[50:51], v[6:7], -v[58:59]
	v_fma_f64 v[101:102], v[101:102], -0.5, v[60:61]
	v_fma_f64 v[60:61], v[109:110], -0.5, v[60:61]
	;; [unrolled: 1-line block ×4, first 2 shown]
	v_add_f64 v[113:114], v[4:5], -v[56:57]
	v_add_f64 v[107:108], v[64:65], -v[68:69]
	;; [unrolled: 1-line block ×5, first 2 shown]
	v_fma_f64 v[99:100], v[105:106], s[4:5], v[85:86]
	v_add_f64 v[70:71], v[70:71], -v[66:67]
	v_add_f64 v[0:1], v[0:1], v[4:5]
	v_add_f64 v[4:5], v[91:92], v[6:7]
	v_fma_f64 v[91:92], v[118:119], s[4:5], v[93:94]
	v_fma_f64 v[93:94], v[118:119], s[10:11], v[93:94]
	v_add_f64 v[87:88], v[87:88], v[77:78]
	v_add_f64 v[89:90], v[89:90], v[79:80]
	;; [unrolled: 1-line block ×3, first 2 shown]
	v_fma_f64 v[122:123], v[120:121], s[10:11], v[52:53]
	v_add_f64 v[66:67], v[66:67], -v[83:84]
	v_add_f64 v[64:65], v[64:65], -v[81:82]
	;; [unrolled: 1-line block ×3, first 2 shown]
	v_add_f64 v[50:51], v[2:3], v[50:51]
	v_fma_f64 v[2:3], v[48:49], s[10:11], v[54:55]
	v_fma_f64 v[52:53], v[120:121], s[4:5], v[52:53]
	;; [unrolled: 1-line block ×4, first 2 shown]
	v_add_f64 v[113:114], v[124:125], v[113:114]
	ds_read_b128 v[40:43], v117 offset:3744
	ds_read_b128 v[44:47], v117 offset:8352
	;; [unrolled: 1-line block ×3, first 2 shown]
	s_mov_b32 s14, 0x372fe950
	v_fma_f64 v[99:100], v[120:121], s[6:7], v[99:100]
	s_mov_b32 s15, 0x3fd3c6ef
	v_add_f64 v[56:57], v[0:1], v[56:57]
	v_add_f64 v[58:59], v[4:5], v[58:59]
	v_fma_f64 v[4:5], v[48:49], s[12:13], v[91:92]
	v_fma_f64 v[48:49], v[48:49], s[6:7], v[93:94]
	v_add_f64 v[87:88], v[87:88], v[81:82]
	v_add_f64 v[89:90], v[89:90], v[83:84]
	v_add_f64 v[91:92], v[81:82], -v[77:78]
	v_fma_f64 v[122:123], v[105:106], s[6:7], v[122:123]
	v_add_f64 v[77:78], v[77:78], -v[81:82]
	v_add_f64 v[81:82], v[83:84], -v[79:80]
	v_add_f64 v[95:96], v[95:96], v[6:7]
	v_add_f64 v[79:80], v[79:80], -v[83:84]
	v_fma_f64 v[124:125], v[118:119], s[12:13], v[2:3]
	v_fma_f64 v[52:53], v[105:106], s[12:13], v[52:53]
	s_waitcnt lgkmcnt(3)
	v_add_f64 v[83:84], v[28:29], v[32:33]
	v_fma_f64 v[105:106], v[66:67], s[4:5], v[101:102]
	s_waitcnt lgkmcnt(0)
	v_add_f64 v[93:94], v[46:47], v[38:39]
	v_fma_f64 v[126:127], v[64:65], s[10:11], v[109:110]
	v_fma_f64 v[128:129], v[103:104], s[10:11], v[60:61]
	;; [unrolled: 1-line block ×9, first 2 shown]
	v_add_f64 v[0:1], v[87:88], v[56:57]
	v_add_f64 v[2:3], v[89:90], v[58:59]
	v_add_f64 v[6:7], v[89:90], -v[58:59]
	v_fma_f64 v[58:59], v[113:114], s[14:15], v[122:123]
	v_fma_f64 v[120:121], v[50:51], s[14:15], v[48:49]
	;; [unrolled: 1-line block ×3, first 2 shown]
	v_add_f64 v[4:5], v[87:88], -v[56:57]
	v_mad_u32_u24 v73, 0x90, v72, v117
	s_mov_b32 s16, 0x9b97f4a8
	s_mov_b32 s17, 0x3fe9e377
	s_barrier
	buffer_gl0_inv
	v_add_f64 v[56:57], v[44:45], v[36:37]
	v_fma_f64 v[87:88], v[95:96], s[14:15], v[124:125]
	v_fma_f64 v[113:114], v[113:114], s[14:15], v[52:53]
	v_mul_f64 v[89:90], v[99:100], s[16:17]
	v_add_f64 v[91:92], v[107:108], v[91:92]
	v_add_f64 v[101:102], v[111:112], v[81:82]
	;; [unrolled: 1-line block ×4, first 2 shown]
	v_fma_f64 v[79:80], v[64:65], s[4:5], v[109:110]
	v_fma_f64 v[105:106], v[103:104], s[6:7], v[105:106]
	;; [unrolled: 1-line block ×3, first 2 shown]
	v_mul_f64 v[99:100], v[99:100], s[12:13]
	v_fma_f64 v[109:110], v[66:67], s[6:7], v[128:129]
	v_fma_f64 v[111:112], v[64:65], s[12:13], v[130:131]
	v_mul_f64 v[115:116], v[118:119], s[4:5]
	v_fma_f64 v[85:86], v[97:98], s[14:15], v[85:86]
	v_fma_f64 v[54:55], v[95:96], s[14:15], v[54:55]
	v_mul_f64 v[95:96], v[58:59], s[10:11]
	ds_write_b128 v73, v[0:3]
	ds_write_b128 v73, v[4:7] offset:80
	v_fma_f64 v[0:1], v[66:67], s[12:13], v[60:61]
	v_fma_f64 v[2:3], v[64:65], s[6:7], v[62:63]
	;; [unrolled: 1-line block ×3, first 2 shown]
	v_fma_f64 v[48:49], v[83:84], -0.5, v[40:41]
	v_add_f64 v[66:67], v[30:31], v[34:35]
	v_add_f64 v[50:51], v[46:47], -v[38:39]
	v_add_f64 v[81:82], v[28:29], -v[32:33]
	v_fma_f64 v[60:61], v[93:94], -0.5, v[42:43]
	v_fma_f64 v[4:5], v[87:88], s[6:7], v[89:90]
	v_mul_f64 v[6:7], v[113:114], s[14:15]
	v_mul_f64 v[62:63], v[120:121], s[14:15]
	v_add_f64 v[52:53], v[30:31], -v[34:35]
	v_fma_f64 v[56:57], v[56:57], -0.5, v[40:41]
	v_fma_f64 v[89:90], v[101:102], s[14:15], v[107:108]
	v_fma_f64 v[83:84], v[87:88], s[16:17], v[99:100]
	;; [unrolled: 1-line block ×6, first 2 shown]
	v_mul_f64 v[68:69], v[85:86], s[16:17]
	v_fma_f64 v[79:80], v[118:119], s[14:15], v[95:96]
	v_mul_f64 v[99:100], v[54:55], s[16:17]
	v_add_f64 v[107:108], v[44:45], -v[28:29]
	v_add_f64 v[109:110], v[36:37], -v[32:33]
	;; [unrolled: 1-line block ×4, first 2 shown]
	v_fma_f64 v[95:96], v[66:67], -0.5, v[42:43]
	v_fma_f64 v[66:67], v[50:51], s[4:5], v[48:49]
	v_add_f64 v[122:123], v[34:35], -v[38:39]
	v_fma_f64 v[124:125], v[81:82], s[4:5], v[60:61]
	v_fma_f64 v[105:106], v[70:71], s[14:15], v[111:112]
	;; [unrolled: 1-line block ×3, first 2 shown]
	v_add_f64 v[111:112], v[28:29], -v[44:45]
	v_add_f64 v[115:116], v[32:33], -v[36:37]
	v_fma_f64 v[126:127], v[52:53], s[10:11], v[56:57]
	v_fma_f64 v[128:129], v[70:71], s[14:15], v[2:3]
	v_fma_f64 v[130:131], v[120:121], s[4:5], -v[6:7]
	v_fma_f64 v[113:114], v[113:114], s[10:11], -v[62:63]
	v_fma_f64 v[91:92], v[91:92], s[14:15], v[64:65]
	v_add_f64 v[0:1], v[87:88], v[4:5]
	v_fma_f64 v[101:102], v[101:102], s[14:15], v[58:59]
	v_fma_f64 v[132:133], v[54:55], s[6:7], -v[68:69]
	v_add_f64 v[2:3], v[89:90], v[83:84]
	v_fma_f64 v[85:86], v[85:86], s[12:13], -v[99:100]
	v_add_f64 v[4:5], v[87:88], -v[4:5]
	v_add_f64 v[6:7], v[89:90], -v[83:84]
	;; [unrolled: 1-line block ×4, first 2 shown]
	v_add_f64 v[54:55], v[107:108], v[109:110]
	v_fma_f64 v[89:90], v[97:98], s[10:11], v[95:96]
	v_fma_f64 v[99:100], v[52:53], s[6:7], v[66:67]
	v_add_f64 v[66:67], v[118:119], v[122:123]
	v_fma_f64 v[107:108], v[97:98], s[12:13], v[124:125]
	v_add_f64 v[62:63], v[103:104], v[93:94]
	v_add_f64 v[64:65], v[105:106], v[79:80]
	;; [unrolled: 1-line block ×3, first 2 shown]
	v_fma_f64 v[109:110], v[50:51], s[6:7], v[126:127]
	v_add_f64 v[118:119], v[103:104], -v[93:94]
	v_add_f64 v[120:121], v[105:106], -v[79:80]
	v_add_f64 v[68:69], v[77:78], v[130:131]
	v_add_f64 v[70:71], v[128:129], v[113:114]
	v_add_f64 v[122:123], v[77:78], -v[130:131]
	v_add_f64 v[124:125], v[128:129], -v[113:114]
	v_add_f64 v[77:78], v[91:92], v[132:133]
	v_add_f64 v[93:94], v[24:25], -v[16:17]
	v_add_f64 v[79:80], v[101:102], v[85:86]
	v_add_f64 v[103:104], v[8:9], -v[12:13]
	v_add_f64 v[105:106], v[16:17], -v[24:25]
	;; [unrolled: 1-line block ×4, first 2 shown]
	v_add_f64 v[83:84], v[83:84], v[87:88]
	v_add_f64 v[115:116], v[10:11], -v[14:15]
	v_add_f64 v[126:127], v[91:92], -v[132:133]
	v_fma_f64 v[91:92], v[81:82], s[12:13], v[89:90]
	v_fma_f64 v[99:100], v[54:55], s[14:15], v[99:100]
	v_add_f64 v[128:129], v[101:102], -v[85:86]
	v_fma_f64 v[85:86], v[66:67], s[14:15], v[107:108]
	v_add_f64 v[101:102], v[16:17], v[12:13]
	v_add_f64 v[107:108], v[24:25], v[8:9]
	ds_write_b128 v73, v[0:3] offset:16
	v_add_f64 v[0:1], v[18:19], v[14:15]
	v_add_f64 v[2:3], v[26:27], v[10:11]
	v_fma_f64 v[130:131], v[58:59], s[14:15], v[109:110]
	ds_write_b128 v73, v[62:65] offset:32
	ds_write_b128 v73, v[68:71] offset:48
	;; [unrolled: 1-line block ×3, first 2 shown]
	v_add_f64 v[62:63], v[18:19], -v[26:27]
	v_add_f64 v[64:65], v[14:15], -v[10:11]
	v_add_f64 v[87:88], v[93:94], v[103:104]
	v_add_f64 v[109:110], v[26:27], -v[10:11]
	v_add_f64 v[89:90], v[105:106], v[111:112]
	v_add_f64 v[111:112], v[18:19], -v[14:15]
	ds_write_b128 v73, v[4:7] offset:96
	ds_write_b128 v73, v[118:121] offset:112
	v_add_f64 v[93:94], v[113:114], v[115:116]
	v_add_f64 v[113:114], v[24:25], -v[8:9]
	v_fma_f64 v[68:69], v[83:84], s[14:15], v[91:92]
	v_mul_f64 v[70:71], v[99:100], s[16:17]
	v_mul_f64 v[77:78], v[99:100], s[12:13]
	v_add_f64 v[115:116], v[16:17], -v[12:13]
	v_fma_f64 v[99:100], v[101:102], -0.5, v[20:21]
	v_fma_f64 v[101:102], v[107:108], -0.5, v[20:21]
	v_mul_f64 v[79:80], v[85:86], s[4:5]
	v_fma_f64 v[105:106], v[0:1], -0.5, v[22:23]
	v_fma_f64 v[107:108], v[2:3], -0.5, v[22:23]
	v_mul_f64 v[91:92], v[130:131], s[10:11]
	s_mov_b32 s1, exec_lo
	ds_write_b128 v73, v[122:125] offset:128
	ds_write_b128 v73, v[126:129] offset:144
	v_add_f64 v[103:104], v[62:63], v[64:65]
	v_fma_f64 v[62:63], v[68:69], s[6:7], v[70:71]
	v_fma_f64 v[70:71], v[68:69], s[16:17], v[77:78]
	v_fma_f64 v[0:1], v[109:110], s[4:5], v[99:100]
	v_fma_f64 v[68:69], v[111:112], s[10:11], v[101:102]
	v_fma_f64 v[64:65], v[130:131], s[14:15], v[79:80]
	v_fma_f64 v[2:3], v[113:114], s[10:11], v[105:106]
	v_fma_f64 v[77:78], v[115:116], s[4:5], v[107:108]
	v_fma_f64 v[79:80], v[85:86], s[14:15], v[91:92]
	v_fma_f64 v[0:1], v[111:112], s[6:7], v[0:1]
	v_fma_f64 v[91:92], v[109:110], s[6:7], v[68:69]
	v_fma_f64 v[2:3], v[115:116], s[12:13], v[2:3]
	v_fma_f64 v[130:131], v[113:114], s[12:13], v[77:78]
	v_fma_f64 v[68:69], v[87:88], s[14:15], v[0:1]
	v_fma_f64 v[77:78], v[89:90], s[14:15], v[91:92]
	v_fma_f64 v[85:86], v[93:94], s[14:15], v[2:3]
	v_fma_f64 v[91:92], v[103:104], s[14:15], v[130:131]
	v_add_f64 v[0:1], v[68:69], -v[62:63]
	v_add_f64 v[4:5], v[77:78], -v[64:65]
	;; [unrolled: 1-line block ×4, first 2 shown]
	v_cmpx_gt_u32_e32 54, v72
	s_cbranch_execz .LBB0_15
; %bb.14:
	v_mul_f64 v[118:119], v[97:98], s[4:5]
	v_mul_f64 v[120:121], v[81:82], s[4:5]
	;; [unrolled: 1-line block ×8, first 2 shown]
	v_add_f64 v[22:23], v[22:23], v[26:27]
	v_add_f64 v[26:27], v[42:43], v[46:47]
	;; [unrolled: 1-line block ×4, first 2 shown]
	v_mul_f64 v[40:41], v[83:84], s[14:15]
	v_mul_f64 v[42:43], v[66:67], s[14:15]
	;; [unrolled: 1-line block ×5, first 2 shown]
	v_add_f64 v[95:96], v[95:96], v[118:119]
	v_add_f64 v[60:61], v[60:61], -v[120:121]
	v_add_f64 v[56:57], v[122:123], v[56:57]
	v_add_f64 v[48:49], v[48:49], -v[124:125]
	v_mul_f64 v[118:119], v[109:110], s[4:5]
	v_mul_f64 v[120:121], v[111:112], s[4:5]
	;; [unrolled: 1-line block ×4, first 2 shown]
	v_add_f64 v[18:19], v[22:23], v[18:19]
	v_add_f64 v[22:23], v[26:27], v[30:31]
	;; [unrolled: 1-line block ×6, first 2 shown]
	v_add_f64 v[50:51], v[56:57], -v[50:51]
	v_add_f64 v[48:49], v[48:49], -v[52:53]
	v_mul_f64 v[52:53], v[111:112], s[6:7]
	v_mul_f64 v[56:57], v[109:110], s[6:7]
	;; [unrolled: 1-line block ×3, first 2 shown]
	v_add_f64 v[24:25], v[105:106], v[122:123]
	v_add_f64 v[26:27], v[107:108], -v[124:125]
	v_add_f64 v[14:15], v[18:19], v[14:15]
	v_add_f64 v[18:19], v[22:23], v[34:35]
	;; [unrolled: 1-line block ×6, first 2 shown]
	v_add_f64 v[40:41], v[99:100], -v[118:119]
	v_add_f64 v[42:43], v[120:121], v[101:102]
	v_add_f64 v[44:45], v[58:59], v[50:51]
	;; [unrolled: 1-line block ×3, first 2 shown]
	v_mul_f64 v[48:49], v[87:88], s[14:15]
	v_mul_f64 v[50:51], v[89:90], s[14:15]
	;; [unrolled: 1-line block ×3, first 2 shown]
	v_add_f64 v[20:21], v[60:61], v[24:25]
	v_add_f64 v[22:23], v[66:67], v[26:27]
	v_mul_f64 v[54:55], v[93:94], s[14:15]
	v_add_f64 v[38:39], v[18:19], v[38:39]
	v_add_f64 v[36:37], v[16:17], v[36:37]
	v_mul_f64 v[24:25], v[28:29], s[16:17]
	v_mul_f64 v[26:27], v[30:31], s[14:15]
	v_add_f64 v[32:33], v[40:41], -v[52:53]
	v_add_f64 v[34:35], v[42:43], -v[56:57]
	v_mul_f64 v[40:41], v[44:45], s[14:15]
	v_mul_f64 v[42:43], v[46:47], s[16:17]
	v_add_f64 v[52:53], v[14:15], v[10:11]
	v_add_f64 v[56:57], v[12:13], v[8:9]
	;; [unrolled: 1-line block ×8, first 2 shown]
	v_fma_f64 v[24:25], v[46:47], s[12:13], -v[24:25]
	v_fma_f64 v[44:45], v[44:45], s[10:11], -v[26:27]
	v_add_f64 v[46:47], v[48:49], v[32:33]
	v_add_f64 v[48:49], v[50:51], v[34:35]
	v_fma_f64 v[40:41], v[30:31], s[4:5], -v[40:41]
	v_fma_f64 v[42:43], v[28:29], s[6:7], -v[42:43]
	v_add_f64 v[22:23], v[52:53], v[38:39]
	v_add_f64 v[20:21], v[56:57], v[36:37]
	v_add_f64 v[18:19], v[52:53], -v[38:39]
	v_add_f64 v[16:17], v[56:57], -v[36:37]
	v_add_f64 v[34:35], v[54:55], v[24:25]
	v_add_f64 v[38:39], v[58:59], v[44:45]
	v_add_f64 v[30:31], v[58:59], -v[44:45]
	v_add_f64 v[26:27], v[54:55], -v[24:25]
	;; [unrolled: 4-line block ×3, first 2 shown]
	v_mul_i32_i24_e32 v40, 10, v76
	v_lshl_add_u32 v40, v40, 4, 0
	ds_write_b128 v40, v[0:3] offset:96
	ds_write_b128 v40, v[4:7] offset:112
	;; [unrolled: 1-line block ×4, first 2 shown]
	ds_write_b128 v40, v[20:23]
	ds_write_b128 v40, v[16:19] offset:80
	ds_write_b128 v40, v[36:39] offset:48
	;; [unrolled: 1-line block ×5, first 2 shown]
.LBB0_15:
	s_or_b32 exec_lo, exec_lo, s1
	v_and_b32_e32 v8, 0xff, v72
	v_mov_b32_e32 v9, 15
	s_waitcnt lgkmcnt(0)
	s_barrier
	buffer_gl0_inv
	v_mul_lo_u16 v8, 0xcd, v8
	v_lshl_add_u32 v84, v76, 4, 0
	v_mad_i32_i24 v16, 0xffffff70, v72, v73
	s_mov_b32 s0, 0x667f3bcd
	s_mov_b32 s1, 0xbfe6a09e
	v_lshrrev_b16 v12, 11, v8
	s_mov_b32 s5, 0x3fe6a09e
	s_mov_b32 s4, s0
	;; [unrolled: 1-line block ×4, first 2 shown]
	v_mul_lo_u16 v8, v12, 10
	s_mov_b32 s15, 0x3fed906b
	s_mov_b32 s14, s6
	;; [unrolled: 1-line block ×4, first 2 shown]
	v_sub_nc_u16 v13, v72, v8
	s_mov_b32 s13, 0x3fd87de2
	s_mov_b32 s12, s10
	v_mov_b32_e32 v71, 0xa0
	v_mul_u32_u24_sdwa v8, v13, v9 dst_sel:DWORD dst_unused:UNUSED_PAD src0_sel:BYTE_0 src1_sel:DWORD
	v_mul_u32_u24_sdwa v12, v12, v71 dst_sel:DWORD dst_unused:UNUSED_PAD src0_sel:WORD_0 src1_sel:DWORD
	v_lshlrev_b32_e32 v14, 4, v8
	s_clause 0xe
	global_load_dwordx4 v[8:11], v14, s[8:9]
	global_load_dwordx4 v[17:20], v14, s[8:9] offset:16
	global_load_dwordx4 v[21:24], v14, s[8:9] offset:32
	;; [unrolled: 1-line block ×14, first 2 shown]
	ds_read_b128 v[85:88], v84
	ds_read_b128 v[89:92], v16 offset:2880
	ds_read_b128 v[93:96], v16 offset:4320
	;; [unrolled: 1-line block ×8, first 2 shown]
	v_or_b32_sdwa v71, v12, v13 dst_sel:DWORD dst_unused:UNUSED_PAD src0_sel:DWORD src1_sel:BYTE_0
	s_waitcnt vmcnt(14) lgkmcnt(8)
	v_mul_f64 v[14:15], v[87:88], v[10:11]
	v_mul_f64 v[10:11], v[85:86], v[10:11]
	s_waitcnt vmcnt(13) lgkmcnt(7)
	v_mul_f64 v[69:70], v[91:92], v[19:20]
	v_mul_f64 v[19:20], v[89:90], v[19:20]
	;; [unrolled: 3-line block ×6, first 2 shown]
	v_fma_f64 v[14:15], v[85:86], v[8:9], -v[14:15]
	v_fma_f64 v[126:127], v[87:88], v[8:9], v[10:11]
	ds_read_b128 v[8:11], v117
	v_fma_f64 v[69:70], v[89:90], v[17:18], -v[69:70]
	v_fma_f64 v[89:90], v[91:92], v[17:18], v[19:20]
	v_fma_f64 v[81:82], v[93:94], v[21:22], -v[81:82]
	v_fma_f64 v[91:92], v[95:96], v[21:22], v[23:24]
	s_waitcnt vmcnt(8) lgkmcnt(3)
	v_mul_f64 v[93:94], v[111:112], v[39:40]
	v_mul_f64 v[39:40], v[109:110], v[39:40]
	v_fma_f64 v[95:96], v[97:98], v[25:26], -v[122:123]
	v_fma_f64 v[97:98], v[99:100], v[25:26], v[27:28]
	s_waitcnt vmcnt(7) lgkmcnt(2)
	v_mul_f64 v[99:100], v[115:116], v[43:44]
	v_mul_f64 v[43:44], v[113:114], v[43:44]
	s_waitcnt vmcnt(6) lgkmcnt(1)
	v_mul_f64 v[122:123], v[120:121], v[47:48]
	v_mul_f64 v[47:48], v[118:119], v[47:48]
	ds_read_b128 v[17:20], v117 offset:14400
	ds_read_b128 v[21:24], v117 offset:12960
	ds_read_b128 v[25:28], v117 offset:20160
	v_fma_f64 v[101:102], v[101:102], v[29:30], -v[124:125]
	v_fma_f64 v[103:104], v[103:104], v[29:30], v[31:32]
	ds_read_b128 v[29:32], v117 offset:15840
	ds_read_b128 v[85:88], v117 offset:18720
	v_fma_f64 v[105:106], v[105:106], v[33:34], -v[128:129]
	v_fma_f64 v[107:108], v[107:108], v[33:34], v[35:36]
	ds_read_b128 v[33:36], v117 offset:21600
	s_waitcnt vmcnt(0) lgkmcnt(0)
	s_barrier
	buffer_gl0_inv
	v_fma_f64 v[93:94], v[109:110], v[37:38], -v[93:94]
	v_fma_f64 v[37:38], v[111:112], v[37:38], v[39:40]
	v_fma_f64 v[99:100], v[113:114], v[41:42], -v[99:100]
	v_mul_f64 v[124:125], v[19:20], v[51:52]
	v_mul_f64 v[39:40], v[17:18], v[51:52]
	;; [unrolled: 1-line block ×5, first 2 shown]
	v_fma_f64 v[41:42], v[115:116], v[41:42], v[43:44]
	v_mul_f64 v[43:44], v[25:26], v[59:60]
	v_mul_f64 v[59:60], v[31:32], v[63:64]
	;; [unrolled: 1-line block ×4, first 2 shown]
	v_fma_f64 v[113:114], v[118:119], v[45:46], -v[122:123]
	v_fma_f64 v[45:46], v[120:121], v[45:46], v[47:48]
	v_mul_f64 v[47:48], v[29:30], v[63:64]
	v_mul_f64 v[63:64], v[33:34], v[79:80]
	;; [unrolled: 1-line block ×3, first 2 shown]
	v_fma_f64 v[17:18], v[17:18], v[49:50], -v[124:125]
	v_fma_f64 v[19:20], v[19:20], v[49:50], v[39:40]
	v_fma_f64 v[21:22], v[21:22], v[53:54], -v[51:52]
	v_fma_f64 v[23:24], v[23:24], v[53:54], v[55:56]
	v_fma_f64 v[25:26], v[25:26], v[57:58], -v[109:110]
	v_add_f64 v[41:42], v[10:11], -v[41:42]
	v_fma_f64 v[27:28], v[27:28], v[57:58], v[43:44]
	v_fma_f64 v[29:30], v[29:30], v[61:62], -v[59:60]
	v_fma_f64 v[39:40], v[85:86], v[65:66], -v[111:112]
	v_fma_f64 v[43:44], v[87:88], v[65:66], v[67:68]
	v_add_f64 v[49:50], v[95:96], -v[113:114]
	v_add_f64 v[45:46], v[97:98], -v[45:46]
	v_fma_f64 v[31:32], v[31:32], v[61:62], v[47:48]
	v_fma_f64 v[35:36], v[35:36], v[77:78], v[63:64]
	v_fma_f64 v[33:34], v[33:34], v[77:78], -v[79:80]
	v_add_f64 v[47:48], v[8:9], -v[99:100]
	v_add_f64 v[17:18], v[69:70], -v[17:18]
	v_add_f64 v[19:20], v[89:90], -v[19:20]
	v_add_f64 v[21:22], v[14:15], -v[21:22]
	v_add_f64 v[23:24], v[126:127], -v[23:24]
	v_add_f64 v[25:26], v[105:106], -v[25:26]
	v_fma_f64 v[10:11], v[10:11], 2.0, -v[41:42]
	v_add_f64 v[27:28], v[107:108], -v[27:28]
	v_add_f64 v[29:30], v[81:82], -v[29:30]
	;; [unrolled: 1-line block ×4, first 2 shown]
	v_fma_f64 v[51:52], v[95:96], 2.0, -v[49:50]
	v_add_f64 v[49:50], v[41:42], v[49:50]
	v_add_f64 v[31:32], v[91:92], -v[31:32]
	v_add_f64 v[35:36], v[37:38], -v[35:36]
	;; [unrolled: 1-line block ×4, first 2 shown]
	v_fma_f64 v[8:9], v[8:9], 2.0, -v[47:48]
	v_fma_f64 v[45:46], v[97:98], 2.0, -v[45:46]
	;; [unrolled: 1-line block ×6, first 2 shown]
	v_add_f64 v[57:58], v[19:20], v[25:26]
	v_fma_f64 v[25:26], v[105:106], 2.0, -v[25:26]
	v_add_f64 v[55:56], v[17:18], -v[27:28]
	v_fma_f64 v[27:28], v[107:108], 2.0, -v[27:28]
	v_add_f64 v[61:62], v[23:24], v[39:40]
	v_add_f64 v[59:60], v[21:22], -v[43:44]
	v_fma_f64 v[39:40], v[101:102], 2.0, -v[39:40]
	v_fma_f64 v[43:44], v[103:104], 2.0, -v[43:44]
	;; [unrolled: 1-line block ×3, first 2 shown]
	v_add_f64 v[63:64], v[29:30], -v[35:36]
	v_add_f64 v[65:66], v[31:32], v[33:34]
	v_fma_f64 v[81:82], v[91:92], 2.0, -v[31:32]
	v_fma_f64 v[33:34], v[93:94], 2.0, -v[33:34]
	;; [unrolled: 1-line block ×5, first 2 shown]
	v_add_f64 v[47:48], v[8:9], -v[51:52]
	v_add_f64 v[45:46], v[10:11], -v[45:46]
	v_fma_f64 v[19:20], v[19:20], 2.0, -v[57:58]
	v_add_f64 v[25:26], v[67:68], -v[25:26]
	v_fma_f64 v[17:18], v[17:18], 2.0, -v[55:56]
	;; [unrolled: 2-line block ×3, first 2 shown]
	v_fma_f64 v[21:22], v[21:22], 2.0, -v[59:60]
	v_add_f64 v[39:40], v[14:15], -v[39:40]
	v_add_f64 v[43:44], v[77:78], -v[43:44]
	v_fma_f64 v[51:52], v[55:56], s[4:5], v[53:54]
	v_fma_f64 v[29:30], v[29:30], 2.0, -v[63:64]
	v_fma_f64 v[31:32], v[31:32], 2.0, -v[65:66]
	v_fma_f64 v[85:86], v[57:58], s[4:5], v[49:50]
	v_add_f64 v[33:34], v[79:80], -v[33:34]
	v_add_f64 v[35:36], v[81:82], -v[35:36]
	v_fma_f64 v[87:88], v[63:64], s[4:5], v[59:60]
	v_fma_f64 v[89:90], v[65:66], s[4:5], v[61:62]
	v_fma_f64 v[8:9], v[8:9], 2.0, -v[47:48]
	v_fma_f64 v[10:11], v[10:11], 2.0, -v[45:46]
	v_fma_f64 v[93:94], v[19:20], s[0:1], v[41:42]
	v_fma_f64 v[67:68], v[67:68], 2.0, -v[25:26]
	v_fma_f64 v[91:92], v[17:18], s[0:1], v[37:38]
	v_fma_f64 v[69:70], v[69:70], 2.0, -v[27:28]
	v_add_f64 v[99:100], v[47:48], -v[27:28]
	v_add_f64 v[101:102], v[45:46], v[25:26]
	v_fma_f64 v[14:15], v[14:15], 2.0, -v[39:40]
	v_fma_f64 v[77:78], v[77:78], 2.0, -v[43:44]
	v_fma_f64 v[51:52], v[57:58], s[0:1], v[51:52]
	v_fma_f64 v[95:96], v[29:30], s[0:1], v[21:22]
	;; [unrolled: 1-line block ×4, first 2 shown]
	v_fma_f64 v[25:26], v[79:80], 2.0, -v[33:34]
	v_fma_f64 v[27:28], v[81:82], 2.0, -v[35:36]
	v_add_f64 v[35:36], v[39:40], -v[35:36]
	v_add_f64 v[33:34], v[43:44], v[33:34]
	v_fma_f64 v[57:58], v[65:66], s[0:1], v[87:88]
	v_fma_f64 v[63:64], v[63:64], s[4:5], v[89:90]
	v_fma_f64 v[79:80], v[17:18], s[4:5], v[93:94]
	v_add_f64 v[67:68], v[8:9], -v[67:68]
	v_fma_f64 v[65:66], v[19:20], s[0:1], v[91:92]
	v_add_f64 v[69:70], v[10:11], -v[69:70]
	v_fma_f64 v[87:88], v[47:48], 2.0, -v[99:100]
	v_fma_f64 v[89:90], v[45:46], 2.0, -v[101:102]
	;; [unrolled: 1-line block ×3, first 2 shown]
	v_fma_f64 v[81:82], v[31:32], s[0:1], v[95:96]
	v_fma_f64 v[85:86], v[29:30], s[4:5], v[97:98]
	v_fma_f64 v[93:94], v[49:50], 2.0, -v[55:56]
	v_add_f64 v[19:20], v[14:15], -v[25:26]
	v_add_f64 v[17:18], v[77:78], -v[27:28]
	v_fma_f64 v[31:32], v[39:40], 2.0, -v[35:36]
	v_fma_f64 v[29:30], v[43:44], 2.0, -v[33:34]
	;; [unrolled: 1-line block ×4, first 2 shown]
	v_fma_f64 v[25:26], v[57:58], s[14:15], v[51:52]
	v_fma_f64 v[27:28], v[63:64], s[14:15], v[55:56]
	v_fma_f64 v[97:98], v[41:42], 2.0, -v[79:80]
	v_fma_f64 v[53:54], v[8:9], 2.0, -v[67:68]
	;; [unrolled: 1-line block ×6, first 2 shown]
	v_fma_f64 v[21:22], v[35:36], s[4:5], v[99:100]
	v_fma_f64 v[23:24], v[33:34], s[4:5], v[101:102]
	v_fma_f64 v[14:15], v[14:15], 2.0, -v[19:20]
	v_fma_f64 v[37:38], v[77:78], 2.0, -v[17:18]
	v_fma_f64 v[47:48], v[31:32], s[0:1], v[87:88]
	v_fma_f64 v[49:50], v[29:30], s[0:1], v[89:90]
	;; [unrolled: 1-line block ×6, first 2 shown]
	v_add_f64 v[17:18], v[67:68], -v[17:18]
	v_add_f64 v[19:20], v[69:70], v[19:20]
	v_fma_f64 v[8:9], v[63:64], s[10:11], v[25:26]
	v_fma_f64 v[10:11], v[57:58], s[12:13], v[27:28]
	;; [unrolled: 1-line block ×6, first 2 shown]
	v_add_f64 v[25:26], v[53:54], -v[14:15]
	v_add_f64 v[27:28], v[59:60], -v[37:38]
	v_fma_f64 v[29:30], v[29:30], s[0:1], v[47:48]
	v_fma_f64 v[31:32], v[31:32], s[4:5], v[49:50]
	;; [unrolled: 1-line block ×6, first 2 shown]
	v_fma_f64 v[12:13], v[67:68], 2.0, -v[17:18]
	v_fma_f64 v[14:15], v[69:70], 2.0, -v[19:20]
	;; [unrolled: 1-line block ×4, first 2 shown]
	v_lshl_add_u32 v69, v71, 4, 0
	v_cmp_gt_u32_e64 s0, 30, v72
	v_fma_f64 v[41:42], v[41:42], s[10:11], v[107:108]
	v_fma_f64 v[43:44], v[45:46], s[12:13], v[109:110]
	v_fma_f64 v[45:46], v[99:100], 2.0, -v[21:22]
	v_fma_f64 v[47:48], v[101:102], 2.0, -v[23:24]
	;; [unrolled: 1-line block ×12, first 2 shown]
	ds_write_b128 v69, v[17:20] offset:1920
	ds_write_b128 v69, v[21:24] offset:2240
	;; [unrolled: 1-line block ×10, first 2 shown]
	ds_write_b128 v69, v[53:56]
	ds_write_b128 v69, v[57:60] offset:320
	ds_write_b128 v69, v[61:64] offset:480
	;; [unrolled: 1-line block ×5, first 2 shown]
	s_waitcnt lgkmcnt(0)
	s_barrier
	buffer_gl0_inv
	ds_read_b128 v[28:31], v117
	ds_read_b128 v[68:71], v117 offset:7680
	ds_read_b128 v[60:63], v117 offset:15360
	;; [unrolled: 1-line block ×3, first 2 shown]
	ds_read_b128 v[12:15], v84
	ds_read_b128 v[24:27], v16 offset:2880
	ds_read_b128 v[52:55], v117 offset:9120
	;; [unrolled: 1-line block ×10, first 2 shown]
	v_mul_i32_i24_e32 v77, 0xffffff70, v72
	v_add_nc_u32_e32 v85, v73, v77
	s_and_saveexec_b32 s1, s0
	s_cbranch_execz .LBB0_17
; %bb.16:
	ds_read_b128 v[8:11], v85 offset:7200
	ds_read_b128 v[0:3], v117 offset:14880
	;; [unrolled: 1-line block ×3, first 2 shown]
.LBB0_17:
	s_or_b32 exec_lo, exec_lo, s1
	v_lshlrev_b32_e32 v78, 1, v72
	v_mov_b32_e32 v79, 0
	v_mov_b32_e32 v106, 0xcccd
	;; [unrolled: 1-line block ×3, first 2 shown]
	s_mov_b32 s4, 0xe8584caa
	s_mov_b32 s5, 0x3febb67a
	v_lshlrev_b64 v[80:81], 4, v[78:79]
	v_add_nc_u32_e32 v78, 40, v78
	s_mov_b32 s7, 0xbfebb67a
	s_mov_b32 s6, s4
	v_add_co_u32 v73, s1, s8, v80
	v_add_co_ci_u32_e64 v77, s1, s9, v81, s1
	v_add_co_u32 v80, s1, 0x800, v73
	v_add_co_ci_u32_e64 v81, s1, 0, v77, s1
	;; [unrolled: 2-line block ×3, first 2 shown]
	s_clause 0x1
	global_load_dwordx4 v[86:89], v[80:81], off offset:352
	global_load_dwordx4 v[90:93], v[82:83], off offset:16
	v_lshlrev_b64 v[80:81], 4, v[78:79]
	v_add_nc_u32_e32 v78, 0xffffffba, v72
	v_add_co_u32 v98, s1, s8, v80
	v_add_co_ci_u32_e64 v99, s1, s9, v81, s1
	v_add_co_u32 v80, s1, 0x800, v98
	v_add_co_ci_u32_e64 v81, s1, 0, v99, s1
	v_cmp_gt_u32_e64 s1, 0x46, v72
	global_load_dwordx4 v[94:97], v[80:81], off offset:352
	v_cndmask_b32_e64 v83, v78, v76, s1
	v_add_co_u32 v80, s1, 0x960, v98
	v_add_co_ci_u32_e64 v81, s1, 0, v99, s1
	v_lshlrev_b32_e32 v78, 1, v83
	v_lshlrev_b32_e32 v83, 4, v83
	global_load_dwordx4 v[98:101], v[80:81], off offset:16
	v_add_nc_u32_e32 v80, 0x10e, v72
	v_lshlrev_b64 v[78:79], 4, v[78:79]
	v_mul_u32_u24_sdwa v107, v80, v106 dst_sel:DWORD dst_unused:UNUSED_PAD src0_sel:WORD_0 src1_sel:DWORD
	v_add_co_u32 v81, s1, s8, v78
	v_add_co_ci_u32_e64 v82, s1, s9, v79, s1
	v_lshrrev_b32_e32 v116, 23, v107
	v_add_co_u32 v78, s1, 0x800, v81
	v_add_co_ci_u32_e64 v79, s1, 0, v82, s1
	global_load_dwordx4 v[102:105], v[78:79], off offset:352
	v_add_nc_u32_e32 v79, 0x168, v72
	v_add_nc_u32_e32 v78, 0x1c2, v72
	v_mul_u32_u24_sdwa v108, v79, v106 dst_sel:DWORD dst_unused:UNUSED_PAD src0_sel:WORD_0 src1_sel:DWORD
	v_mul_u32_u24_sdwa v106, v78, v106 dst_sel:DWORD dst_unused:UNUSED_PAD src0_sel:WORD_0 src1_sel:DWORD
	v_lshrrev_b32_e32 v107, 23, v108
	v_lshrrev_b32_e32 v106, 23, v106
	v_mul_lo_u16 v108, 0xa0, v116
	v_mul_u32_u24_e32 v116, 0x1e00, v116
	v_mul_lo_u16 v107, 0xa0, v107
	v_mul_lo_u16 v106, 0xa0, v106
	v_sub_nc_u16 v120, v80, v108
	v_sub_nc_u16 v108, v79, v107
	;; [unrolled: 1-line block ×3, first 2 shown]
	v_add_co_u32 v106, s1, 0x960, v81
	v_lshlrev_b32_sdwa v118, v109, v120 dst_sel:DWORD dst_unused:UNUSED_PAD src0_sel:DWORD src1_sel:WORD_0
	v_add_co_ci_u32_e64 v107, s1, 0, v82, s1
	v_and_b32_e32 v81, 0xffff, v108
	v_and_b32_e32 v82, 0xffff, v114
	global_load_dwordx4 v[106:109], v[106:107], off offset:16
	v_lshlrev_b32_e32 v119, 5, v82
	s_waitcnt vmcnt(5) lgkmcnt(13)
	v_mul_f64 v[110:111], v[70:71], v[88:89]
	v_mul_f64 v[88:89], v[68:69], v[88:89]
	s_waitcnt vmcnt(4) lgkmcnt(12)
	v_mul_f64 v[112:113], v[62:63], v[92:93]
	v_mul_f64 v[92:93], v[60:61], v[92:93]
	v_fma_f64 v[110:111], v[68:69], v[86:87], -v[110:111]
	v_fma_f64 v[114:115], v[70:71], v[86:87], v[88:89]
	s_waitcnt vmcnt(3) lgkmcnt(7)
	v_mul_f64 v[68:69], v[66:67], v[96:97]
	v_mul_f64 v[70:71], v[64:65], v[96:97]
	v_add_co_u32 v88, s1, s8, v118
	v_add_co_ci_u32_e64 v89, null, s9, 0, s1
	v_fma_f64 v[96:97], v[60:61], v[90:91], -v[112:113]
	v_add_co_u32 v86, s1, 0x800, v88
	v_add_co_ci_u32_e64 v87, s1, 0, v89, s1
	v_fma_f64 v[90:91], v[62:63], v[90:91], v[92:93]
	v_lshlrev_b32_e32 v118, 5, v81
	v_add_co_u32 v88, s1, 0x960, v88
	global_load_dwordx4 v[60:63], v[86:87], off offset:352
	s_waitcnt vmcnt(3) lgkmcnt(6)
	v_mul_f64 v[86:87], v[58:59], v[100:101]
	v_mul_f64 v[92:93], v[56:57], v[100:101]
	v_add_co_ci_u32_e64 v89, s1, 0, v89, s1
	v_add_co_u32 v118, s1, s8, v118
	v_add_co_ci_u32_e64 v121, null, s9, 0, s1
	v_fma_f64 v[100:101], v[64:65], v[94:95], -v[68:69]
	v_fma_f64 v[94:95], v[66:67], v[94:95], v[70:71]
	global_load_dwordx4 v[64:67], v[88:89], off offset:16
	v_add_co_u32 v68, s1, 0x800, v118
	s_waitcnt vmcnt(3)
	v_mul_f64 v[112:113], v[54:55], v[104:105]
	v_mul_f64 v[104:105], v[52:53], v[104:105]
	v_add_co_ci_u32_e64 v69, s1, 0, v121, s1
	v_add_co_u32 v70, s1, 0x960, v118
	v_add_co_ci_u32_e64 v71, s1, 0, v121, s1
	v_add_co_u32 v88, s1, s8, v119
	v_add_co_ci_u32_e64 v89, null, s9, 0, s1
	v_fma_f64 v[118:119], v[56:57], v[98:99], -v[86:87]
	v_add_co_u32 v86, s1, 0x800, v88
	v_add_co_ci_u32_e64 v87, s1, 0, v89, s1
	v_fma_f64 v[92:93], v[58:59], v[98:99], v[92:93]
	v_add_co_u32 v98, s1, 0x960, v88
	v_add_co_ci_u32_e64 v99, s1, 0, v89, s1
	s_clause 0x2
	global_load_dwordx4 v[56:59], v[68:69], off offset:352
	global_load_dwordx4 v[86:89], v[86:87], off offset:352
	;; [unrolled: 1-line block ×3, first 2 shown]
	v_fma_f64 v[112:113], v[52:53], v[102:103], -v[112:113]
	v_fma_f64 v[102:103], v[54:55], v[102:103], v[104:105]
	global_load_dwordx4 v[52:55], v[98:99], off offset:16
	v_cmp_lt_u32_e64 s1, 0x45, v72
	v_lshl_add_u32 v81, v81, 4, 0
	s_waitcnt vmcnt(6)
	v_mul_f64 v[98:99], v[46:47], v[108:109]
	v_mul_f64 v[104:105], v[44:45], v[108:109]
	s_waitcnt vmcnt(0) lgkmcnt(0)
	v_cndmask_b32_e64 v132, 0, 0x1e00, s1
	s_barrier
	buffer_gl0_inv
	v_add3_u32 v83, 0, v132, v83
	v_fma_f64 v[44:45], v[44:45], v[106:107], -v[98:99]
	v_fma_f64 v[46:47], v[46:47], v[106:107], v[104:105]
	v_add_f64 v[106:107], v[110:111], -v[96:97]
	v_mul_f64 v[108:109], v[50:51], v[62:63]
	v_mul_f64 v[62:63], v[48:49], v[62:63]
	;; [unrolled: 1-line block ×4, first 2 shown]
	v_fma_f64 v[48:49], v[48:49], v[60:61], -v[108:109]
	v_fma_f64 v[50:51], v[50:51], v[60:61], v[62:63]
	v_add_f64 v[108:109], v[102:103], -v[46:47]
	v_fma_f64 v[40:41], v[40:41], v[64:65], -v[98:99]
	v_fma_f64 v[42:43], v[42:43], v[64:65], v[66:67]
	v_add_f64 v[98:99], v[114:115], -v[90:91]
	v_mul_f64 v[104:105], v[38:39], v[58:59]
	v_mul_f64 v[58:59], v[36:37], v[58:59]
	;; [unrolled: 1-line block ×8, first 2 shown]
	v_mov_b32_e32 v88, 4
	v_lshlrev_b32_sdwa v133, v88, v120 dst_sel:DWORD dst_unused:UNUSED_PAD src0_sel:DWORD src1_sel:WORD_0
	v_add_f64 v[88:89], v[30:31], v[114:115]
	v_add_f64 v[120:121], v[22:23], v[50:51]
	v_add_f64 v[126:127], v[48:49], -v[40:41]
	v_add_f64 v[122:123], v[50:51], v[42:43]
	v_add_f64 v[124:125], v[50:51], -v[42:43]
	v_fma_f64 v[36:37], v[36:37], v[56:57], -v[104:105]
	v_fma_f64 v[38:39], v[38:39], v[56:57], v[58:59]
	v_add_f64 v[58:59], v[110:111], v[96:97]
	v_add_f64 v[104:105], v[114:115], v[90:91]
	v_fma_f64 v[0:1], v[0:1], v[86:87], -v[70:71]
	v_fma_f64 v[2:3], v[2:3], v[86:87], v[64:65]
	v_fma_f64 v[4:5], v[4:5], v[52:53], -v[66:67]
	v_fma_f64 v[6:7], v[6:7], v[52:53], v[54:55]
	v_add_f64 v[52:53], v[24:25], v[100:101]
	v_add_f64 v[54:55], v[26:27], v[94:95]
	v_fma_f64 v[60:61], v[32:33], v[68:69], -v[60:61]
	v_fma_f64 v[62:63], v[34:35], v[68:69], v[62:63]
	v_add_f64 v[56:57], v[28:29], v[110:111]
	v_add_f64 v[66:67], v[94:95], -v[92:93]
	v_add_f64 v[68:69], v[94:95], v[92:93]
	v_add_f64 v[86:87], v[12:13], v[112:113]
	v_add_f64 v[94:95], v[112:113], v[44:45]
	v_add_f64 v[110:111], v[112:113], -v[44:45]
	v_add_f64 v[112:113], v[20:21], v[48:49]
	v_add_f64 v[114:115], v[48:49], v[40:41]
	;; [unrolled: 4-line block ×3, first 2 shown]
	v_fma_f64 v[48:49], v[58:59], -0.5, v[28:29]
	v_fma_f64 v[50:51], v[104:105], -0.5, v[30:31]
	v_add_f64 v[34:35], v[88:89], v[90:91]
	v_add_f64 v[88:89], v[18:19], v[38:39]
	v_add_f64 v[130:131], v[0:1], -v[4:5]
	v_add_f64 v[128:129], v[2:3], -v[6:7]
	v_add_f64 v[28:29], v[52:53], v[118:119]
	v_add_f64 v[30:31], v[54:55], v[92:93]
	;; [unrolled: 1-line block ×9, first 2 shown]
	v_fma_f64 v[68:69], v[68:69], -0.5, v[26:27]
	v_add_f64 v[56:57], v[16:17], v[36:37]
	v_add_f64 v[104:105], v[38:39], -v[62:63]
	v_fma_f64 v[64:65], v[64:65], -0.5, v[24:25]
	v_add_f64 v[24:25], v[86:87], v[44:45]
	v_fma_f64 v[86:87], v[94:95], -0.5, v[12:13]
	v_fma_f64 v[94:95], v[102:103], -0.5, v[14:15]
	v_add_f64 v[26:27], v[100:101], v[46:47]
	v_fma_f64 v[100:101], v[114:115], -0.5, v[20:21]
	v_fma_f64 v[102:103], v[122:123], -0.5, v[22:23]
	v_add_f64 v[118:119], v[36:37], -v[60:61]
	v_fma_f64 v[20:21], v[98:99], s[4:5], v[48:49]
	v_fma_f64 v[36:37], v[98:99], s[6:7], v[48:49]
	;; [unrolled: 1-line block ×4, first 2 shown]
	v_fma_f64 v[8:9], v[52:53], -0.5, v[8:9]
	v_fma_f64 v[10:11], v[92:93], -0.5, v[10:11]
	;; [unrolled: 1-line block ×4, first 2 shown]
	v_add_f64 v[12:13], v[112:113], v[40:41]
	v_add_f64 v[0:1], v[54:55], v[4:5]
	v_add_f64 v[2:3], v[96:97], v[6:7]
	v_add_f64 v[14:15], v[120:121], v[42:43]
	v_fma_f64 v[42:43], v[70:71], s[6:7], v[68:69]
	v_fma_f64 v[46:47], v[70:71], s[4:5], v[68:69]
	;; [unrolled: 1-line block ×8, first 2 shown]
	v_add_f64 v[16:17], v[56:57], v[60:61]
	v_fma_f64 v[56:57], v[124:125], s[4:5], v[100:101]
	v_fma_f64 v[58:59], v[126:127], s[6:7], v[102:103]
	v_add_f64 v[18:19], v[88:89], v[62:63]
	v_fma_f64 v[60:61], v[124:125], s[6:7], v[100:101]
	v_fma_f64 v[62:63], v[126:127], s[4:5], v[102:103]
	v_fma_f64 v[4:5], v[128:129], s[4:5], v[8:9]
	v_fma_f64 v[8:9], v[128:129], s[6:7], v[8:9]
	v_fma_f64 v[6:7], v[130:131], s[6:7], v[10:11]
	v_fma_f64 v[10:11], v[130:131], s[4:5], v[10:11]
	v_fma_f64 v[64:65], v[104:105], s[4:5], v[98:99]
	v_fma_f64 v[66:67], v[118:119], s[6:7], v[90:91]
	v_fma_f64 v[68:69], v[104:105], s[6:7], v[98:99]
	v_fma_f64 v[70:71], v[118:119], s[4:5], v[90:91]
	v_add3_u32 v86, 0, v116, v133
	ds_write_b128 v117, v[32:35]
	ds_write_b128 v117, v[20:23] offset:2560
	ds_write_b128 v117, v[36:39] offset:5120
	ds_write_b128 v83, v[24:27]
	ds_write_b128 v83, v[48:51] offset:2560
	ds_write_b128 v83, v[52:55] offset:5120
	;; [unrolled: 1-line block ×5, first 2 shown]
	ds_write_b128 v86, v[12:15]
	ds_write_b128 v86, v[56:59] offset:2560
	ds_write_b128 v86, v[60:63] offset:5120
	;; [unrolled: 1-line block ×5, first 2 shown]
	s_and_saveexec_b32 s1, s0
	s_cbranch_execz .LBB0_19
; %bb.18:
	v_lshl_add_u32 v12, v82, 4, 0
	ds_write_b128 v12, v[0:3] offset:15360
	ds_write_b128 v12, v[4:7] offset:17920
	;; [unrolled: 1-line block ×3, first 2 shown]
.LBB0_19:
	s_or_b32 exec_lo, exec_lo, s1
	s_waitcnt lgkmcnt(0)
	s_barrier
	buffer_gl0_inv
	ds_read_b128 v[28:31], v117
	ds_read_b128 v[68:71], v117 offset:7680
	ds_read_b128 v[64:67], v117 offset:15360
	;; [unrolled: 1-line block ×3, first 2 shown]
	ds_read_b128 v[24:27], v84
	ds_read_b128 v[12:15], v85 offset:2880
	ds_read_b128 v[60:63], v117 offset:9120
	;; [unrolled: 1-line block ×10, first 2 shown]
	s_and_saveexec_b32 s1, s0
	s_cbranch_execz .LBB0_21
; %bb.20:
	ds_read_b128 v[0:3], v85 offset:7200
	ds_read_b128 v[4:7], v117 offset:14880
	ds_read_b128 v[8:11], v117 offset:22560
.LBB0_21:
	s_or_b32 exec_lo, exec_lo, s1
	v_lshlrev_b32_e32 v82, 1, v76
	v_mov_b32_e32 v83, 0
	v_add_co_u32 v86, s1, 0x1800, v73
	v_add_co_ci_u32_e64 v87, s1, 0, v77, s1
	v_lshlrev_b64 v[94:95], 4, v[82:83]
	v_add_nc_u32_e32 v81, 0xb4, v72
	v_add_co_u32 v90, s1, 0x1d60, v73
	v_add_co_ci_u32_e64 v91, s1, 0, v77, s1
	v_lshlrev_b32_e32 v82, 1, v81
	v_add_co_u32 v73, s1, s8, v94
	s_clause 0x1
	global_load_dwordx4 v[86:89], v[86:87], off offset:1376
	global_load_dwordx4 v[90:93], v[90:91], off offset:16
	v_add_co_ci_u32_e64 v77, s1, s9, v95, s1
	v_lshlrev_b64 v[96:97], 4, v[82:83]
	v_add_co_u32 v94, s1, 0x1800, v73
	v_add_co_ci_u32_e64 v95, s1, 0, v77, s1
	v_add_co_u32 v98, s1, 0x1d60, v73
	v_add_co_ci_u32_e64 v99, s1, 0, v77, s1
	v_lshlrev_b32_e32 v82, 1, v80
	v_add_co_u32 v73, s1, s8, v96
	v_add_co_ci_u32_e64 v77, s1, s9, v97, s1
	v_lshlrev_b64 v[102:103], 4, v[82:83]
	v_add_co_u32 v104, s1, 0x1800, v73
	v_add_co_ci_u32_e64 v105, s1, 0, v77, s1
	v_add_co_u32 v106, s1, 0x1d60, v73
	v_add_co_ci_u32_e64 v107, s1, 0, v77, s1
	v_lshlrev_b32_e32 v82, 1, v79
	v_add_co_u32 v73, s1, s8, v102
	s_clause 0x1
	global_load_dwordx4 v[94:97], v[94:95], off offset:1376
	global_load_dwordx4 v[98:101], v[98:99], off offset:16
	v_add_co_ci_u32_e64 v77, s1, s9, v103, s1
	v_lshlrev_b64 v[110:111], 4, v[82:83]
	v_add_co_u32 v114, s1, 0x1d60, v73
	v_add_co_ci_u32_e64 v115, s1, 0, v77, s1
	v_add_co_u32 v112, s1, 0x1800, v73
	v_add_co_ci_u32_e64 v113, s1, 0, v77, s1
	;; [unrolled: 2-line block ×3, first 2 shown]
	s_clause 0x1
	global_load_dwordx4 v[102:105], v[104:105], off offset:1376
	global_load_dwordx4 v[106:109], v[106:107], off offset:16
	v_add_co_u32 v122, s1, 0x1800, v73
	v_add_co_ci_u32_e64 v123, s1, 0, v77, s1
	v_add_co_u32 v126, s1, 0x1d60, v73
	v_add_co_ci_u32_e64 v127, s1, 0, v77, s1
	s_clause 0x3
	global_load_dwordx4 v[110:113], v[112:113], off offset:1376
	global_load_dwordx4 v[118:121], v[114:115], off offset:16
	global_load_dwordx4 v[122:125], v[122:123], off offset:1376
	global_load_dwordx4 v[126:129], v[126:127], off offset:16
	s_mov_b32 s6, s4
	s_waitcnt vmcnt(0) lgkmcnt(0)
	s_barrier
	buffer_gl0_inv
	v_mul_f64 v[114:115], v[70:71], v[88:89]
	v_mul_f64 v[88:89], v[68:69], v[88:89]
	;; [unrolled: 1-line block ×4, first 2 shown]
	v_fma_f64 v[68:69], v[68:69], v[86:87], -v[114:115]
	v_fma_f64 v[70:71], v[70:71], v[86:87], v[88:89]
	v_fma_f64 v[64:65], v[64:65], v[90:91], -v[130:131]
	v_fma_f64 v[66:67], v[66:67], v[90:91], v[92:93]
	v_mul_f64 v[86:87], v[62:63], v[96:97]
	v_mul_f64 v[88:89], v[60:61], v[96:97]
	;; [unrolled: 1-line block ×8, first 2 shown]
	v_fma_f64 v[60:61], v[60:61], v[94:95], -v[86:87]
	v_fma_f64 v[62:63], v[62:63], v[94:95], v[88:89]
	v_fma_f64 v[56:57], v[56:57], v[98:99], -v[96:97]
	v_mul_f64 v[94:95], v[34:35], v[120:121]
	v_mul_f64 v[86:87], v[46:47], v[112:113]
	;; [unrolled: 1-line block ×4, first 2 shown]
	v_fma_f64 v[58:59], v[58:59], v[98:99], v[100:101]
	v_mul_f64 v[96:97], v[38:39], v[124:125]
	v_mul_f64 v[98:99], v[42:43], v[128:129]
	;; [unrolled: 1-line block ×4, first 2 shown]
	v_fma_f64 v[52:53], v[52:53], v[102:103], -v[90:91]
	v_fma_f64 v[54:55], v[54:55], v[102:103], v[92:93]
	v_fma_f64 v[48:49], v[48:49], v[106:107], -v[104:105]
	v_fma_f64 v[50:51], v[50:51], v[106:107], v[108:109]
	v_add_f64 v[90:91], v[28:29], v[68:69]
	v_add_f64 v[102:103], v[30:31], v[70:71]
	;; [unrolled: 1-line block ×4, first 2 shown]
	v_add_f64 v[68:69], v[68:69], -v[64:65]
	v_fma_f64 v[44:45], v[44:45], v[110:111], -v[86:87]
	v_fma_f64 v[86:87], v[32:33], v[118:119], -v[94:95]
	v_fma_f64 v[46:47], v[46:47], v[110:111], v[88:89]
	v_fma_f64 v[88:89], v[34:35], v[118:119], v[112:113]
	v_fma_f64 v[36:37], v[36:37], v[122:123], -v[96:97]
	v_fma_f64 v[40:41], v[40:41], v[126:127], -v[98:99]
	v_fma_f64 v[38:39], v[38:39], v[122:123], v[100:101]
	v_fma_f64 v[42:43], v[42:43], v[126:127], v[114:115]
	v_add_f64 v[94:95], v[70:71], v[66:67]
	v_add_f64 v[98:99], v[60:61], v[56:57]
	v_add_f64 v[100:101], v[62:63], -v[58:59]
	v_add_f64 v[62:63], v[62:63], v[58:59]
	v_add_f64 v[106:107], v[12:13], v[52:53]
	;; [unrolled: 1-line block ×4, first 2 shown]
	v_add_f64 v[110:111], v[54:55], -v[50:51]
	v_add_f64 v[54:55], v[54:55], v[50:51]
	v_add_f64 v[114:115], v[52:53], -v[48:49]
	v_add_f64 v[32:33], v[90:91], v[64:65]
	;; [unrolled: 2-line block ×3, first 2 shown]
	v_add_f64 v[34:35], v[102:103], v[66:67]
	v_fma_f64 v[28:29], v[92:93], -0.5, v[28:29]
	v_add_f64 v[52:53], v[44:45], v[86:87]
	v_add_f64 v[60:61], v[60:61], -v[56:57]
	v_add_f64 v[64:65], v[46:47], v[88:89]
	v_add_f64 v[92:93], v[20:21], v[44:45]
	;; [unrolled: 1-line block ×3, first 2 shown]
	v_add_f64 v[102:103], v[44:45], -v[86:87]
	v_add_f64 v[66:67], v[38:39], v[42:43]
	v_fma_f64 v[30:31], v[94:95], -0.5, v[30:31]
	v_add_f64 v[44:45], v[16:17], v[36:37]
	v_add_f64 v[118:119], v[18:19], v[38:39]
	v_fma_f64 v[98:99], v[98:99], -0.5, v[24:25]
	v_fma_f64 v[62:63], v[62:63], -0.5, v[26:27]
	v_add_f64 v[94:95], v[46:47], -v[88:89]
	v_add_f64 v[46:47], v[22:23], v[46:47]
	v_fma_f64 v[108:109], v[108:109], -0.5, v[12:13]
	v_fma_f64 v[54:55], v[54:55], -0.5, v[14:15]
	v_add_f64 v[14:15], v[104:105], v[58:59]
	v_add_f64 v[120:121], v[38:39], -v[42:43]
	v_add_f64 v[122:123], v[36:37], -v[40:41]
	v_add_f64 v[12:13], v[96:97], v[56:57]
	v_fma_f64 v[24:25], v[70:71], s[6:7], v[28:29]
	v_fma_f64 v[58:59], v[52:53], -0.5, v[20:21]
	v_add_f64 v[20:21], v[106:107], v[48:49]
	v_fma_f64 v[64:65], v[64:65], -0.5, v[22:23]
	v_add_f64 v[22:23], v[112:113], v[50:51]
	v_fma_f64 v[90:91], v[90:91], -0.5, v[16:17]
	v_fma_f64 v[16:17], v[70:71], s[4:5], v[28:29]
	v_fma_f64 v[96:97], v[66:67], -0.5, v[18:19]
	v_fma_f64 v[18:19], v[68:69], s[6:7], v[30:31]
	v_fma_f64 v[26:27], v[68:69], s[4:5], v[30:31]
	v_add_f64 v[36:37], v[44:45], v[40:41]
	v_add_f64 v[38:39], v[118:119], v[42:43]
	v_fma_f64 v[40:41], v[100:101], s[4:5], v[98:99]
	v_fma_f64 v[42:43], v[60:61], s[6:7], v[62:63]
	v_add_f64 v[30:31], v[46:47], v[88:89]
	v_fma_f64 v[44:45], v[100:101], s[6:7], v[98:99]
	v_fma_f64 v[46:47], v[60:61], s[4:5], v[62:63]
	;; [unrolled: 3-line block ×3, first 2 shown]
	v_fma_f64 v[52:53], v[110:111], s[6:7], v[108:109]
	v_fma_f64 v[54:55], v[114:115], s[4:5], v[54:55]
	;; [unrolled: 1-line block ×10, first 2 shown]
	ds_write_b128 v117, v[32:35]
	ds_write_b128 v117, v[16:19] offset:7680
	ds_write_b128 v117, v[24:27] offset:15360
	ds_write_b128 v84, v[12:15]
	ds_write_b128 v84, v[40:43] offset:7680
	ds_write_b128 v84, v[44:47] offset:15360
	;; [unrolled: 1-line block ×11, first 2 shown]
	s_and_saveexec_b32 s1, s0
	s_cbranch_execz .LBB0_23
; %bb.22:
	v_subrev_nc_u32_e32 v12, 30, v72
	v_cndmask_b32_e64 v12, v12, v78, s0
	v_lshlrev_b32_e32 v82, 1, v12
	v_lshlrev_b64 v[12:13], 4, v[82:83]
	v_add_co_u32 v14, s0, s8, v12
	v_add_co_ci_u32_e64 v15, s0, s9, v13, s0
	v_add_co_u32 v12, s0, 0x1800, v14
	v_add_co_ci_u32_e64 v13, s0, 0, v15, s0
	;; [unrolled: 2-line block ×3, first 2 shown]
	s_clause 0x1
	global_load_dwordx4 v[12:15], v[12:13], off offset:1376
	global_load_dwordx4 v[16:19], v[16:17], off offset:16
	s_waitcnt vmcnt(1)
	v_mul_f64 v[20:21], v[4:5], v[14:15]
	s_waitcnt vmcnt(0)
	v_mul_f64 v[22:23], v[8:9], v[18:19]
	v_mul_f64 v[14:15], v[6:7], v[14:15]
	;; [unrolled: 1-line block ×3, first 2 shown]
	v_fma_f64 v[6:7], v[6:7], v[12:13], v[20:21]
	v_fma_f64 v[10:11], v[10:11], v[16:17], v[22:23]
	v_fma_f64 v[4:5], v[4:5], v[12:13], -v[14:15]
	v_fma_f64 v[8:9], v[8:9], v[16:17], -v[18:19]
	v_add_f64 v[18:19], v[2:3], v[6:7]
	v_add_f64 v[12:13], v[6:7], v[10:11]
	v_add_f64 v[20:21], v[6:7], -v[10:11]
	v_add_f64 v[14:15], v[4:5], v[8:9]
	v_add_f64 v[16:17], v[4:5], -v[8:9]
	v_add_f64 v[4:5], v[0:1], v[4:5]
	v_fma_f64 v[12:13], v[12:13], -0.5, v[2:3]
	v_add_f64 v[2:3], v[18:19], v[10:11]
	v_fma_f64 v[14:15], v[14:15], -0.5, v[0:1]
	v_add_f64 v[0:1], v[4:5], v[8:9]
	v_fma_f64 v[10:11], v[16:17], s[6:7], v[12:13]
	v_fma_f64 v[6:7], v[16:17], s[4:5], v[12:13]
	;; [unrolled: 1-line block ×4, first 2 shown]
	ds_write_b128 v117, v[0:3] offset:7200
	ds_write_b128 v117, v[8:11] offset:14880
	;; [unrolled: 1-line block ×3, first 2 shown]
.LBB0_23:
	s_or_b32 exec_lo, exec_lo, s1
	s_waitcnt lgkmcnt(0)
	s_barrier
	buffer_gl0_inv
	ds_read_b128 v[4:7], v117
	v_lshlrev_b32_e32 v0, 4, v72
	s_add_u32 s1, s8, 0x5960
	s_addc_u32 s4, s9, 0
	s_mov_b32 s5, exec_lo
                                        ; implicit-def: $vgpr8_vgpr9
                                        ; implicit-def: $vgpr10_vgpr11
	v_sub_nc_u32_e32 v12, 0, v0
                                        ; implicit-def: $vgpr0_vgpr1
	v_cmpx_ne_u32_e32 0, v72
	s_xor_b32 s5, exec_lo, s5
	s_cbranch_execz .LBB0_25
; %bb.24:
	v_mov_b32_e32 v73, 0
	v_lshlrev_b64 v[0:1], 4, v[72:73]
	v_add_co_u32 v0, s0, s1, v0
	v_add_co_ci_u32_e64 v1, s0, s4, v1, s0
	global_load_dwordx4 v[13:16], v[0:1], off
	ds_read_b128 v[0:3], v12 offset:23040
	s_waitcnt lgkmcnt(0)
	v_add_f64 v[8:9], v[4:5], -v[0:1]
	v_add_f64 v[10:11], v[6:7], v[2:3]
	v_add_f64 v[2:3], v[6:7], -v[2:3]
	v_add_f64 v[0:1], v[4:5], v[0:1]
	v_mul_f64 v[6:7], v[8:9], 0.5
	v_mul_f64 v[4:5], v[10:11], 0.5
	;; [unrolled: 1-line block ×3, first 2 shown]
	s_waitcnt vmcnt(0)
	v_mul_f64 v[8:9], v[6:7], v[15:16]
	v_fma_f64 v[10:11], v[4:5], v[15:16], v[2:3]
	v_fma_f64 v[2:3], v[4:5], v[15:16], -v[2:3]
	v_fma_f64 v[17:18], v[0:1], 0.5, v[8:9]
	v_fma_f64 v[0:1], v[0:1], 0.5, -v[8:9]
	v_fma_f64 v[10:11], -v[13:14], v[6:7], v[10:11]
	v_fma_f64 v[2:3], -v[13:14], v[6:7], v[2:3]
	v_fma_f64 v[8:9], v[4:5], v[13:14], v[17:18]
	v_fma_f64 v[0:1], -v[4:5], v[13:14], v[0:1]
                                        ; implicit-def: $vgpr4_vgpr5
.LBB0_25:
	s_andn2_saveexec_b32 s0, s5
	s_cbranch_execz .LBB0_27
; %bb.26:
	v_mov_b32_e32 v15, 0
	s_waitcnt lgkmcnt(0)
	v_add_f64 v[8:9], v[4:5], v[6:7]
	v_add_f64 v[0:1], v[4:5], -v[6:7]
	v_mov_b32_e32 v10, 0
	v_mov_b32_e32 v11, 0
	ds_read_b64 v[13:14], v15 offset:11528
	v_mov_b32_e32 v2, v10
	v_mov_b32_e32 v3, v11
	s_waitcnt lgkmcnt(0)
	v_xor_b32_e32 v14, 0x80000000, v14
	ds_write_b64 v15, v[13:14] offset:11528
.LBB0_27:
	s_or_b32 exec_lo, exec_lo, s0
	v_mov_b32_e32 v77, 0
	ds_write2_b64 v117, v[8:9], v[10:11] offset1:1
	ds_write_b128 v12, v[0:3] offset:23040
	s_waitcnt lgkmcnt(2)
	v_lshlrev_b64 v[4:5], 4, v[76:77]
	v_mov_b32_e32 v82, v77
	v_add_nc_u32_e32 v76, 0x21c, v72
	v_lshlrev_b64 v[13:14], 4, v[81:82]
	v_add_co_u32 v4, s0, s1, v4
	v_add_co_ci_u32_e64 v5, s0, s4, v5, s0
	v_mov_b32_e32 v81, v77
	v_add_co_u32 v13, s0, s1, v13
	global_load_dwordx4 v[4:7], v[4:5], off
	v_add_co_ci_u32_e64 v14, s0, s4, v14, s0
	v_lshlrev_b64 v[17:18], 4, v[80:81]
	v_mov_b32_e32 v80, v77
	global_load_dwordx4 v[13:16], v[13:14], off
	ds_read_b128 v[0:3], v84
	ds_read_b128 v[8:11], v12 offset:21600
	v_add_co_u32 v17, s0, s1, v17
	v_add_co_ci_u32_e64 v18, s0, s4, v18, s0
	global_load_dwordx4 v[17:20], v[17:18], off
	s_waitcnt lgkmcnt(0)
	v_add_f64 v[21:22], v[0:1], -v[8:9]
	v_add_f64 v[23:24], v[2:3], v[10:11]
	v_add_f64 v[2:3], v[2:3], -v[10:11]
	v_add_f64 v[0:1], v[0:1], v[8:9]
	v_mul_f64 v[10:11], v[21:22], 0.5
	v_mul_f64 v[21:22], v[23:24], 0.5
	;; [unrolled: 1-line block ×3, first 2 shown]
	s_waitcnt vmcnt(2)
	v_mul_f64 v[8:9], v[10:11], v[6:7]
	v_fma_f64 v[23:24], v[21:22], v[6:7], v[2:3]
	v_fma_f64 v[2:3], v[21:22], v[6:7], -v[2:3]
	v_fma_f64 v[6:7], v[0:1], 0.5, v[8:9]
	v_fma_f64 v[0:1], v[0:1], 0.5, -v[8:9]
	v_fma_f64 v[8:9], -v[4:5], v[10:11], v[23:24]
	v_fma_f64 v[2:3], -v[4:5], v[10:11], v[2:3]
	v_lshlrev_b64 v[10:11], 4, v[79:80]
	v_mov_b32_e32 v79, v77
	v_fma_f64 v[6:7], v[21:22], v[4:5], v[6:7]
	v_fma_f64 v[0:1], -v[21:22], v[4:5], v[0:1]
	ds_write2_b64 v84, v[6:7], v[8:9] offset1:1
	ds_write_b128 v12, v[0:3] offset:21600
	v_add_co_u32 v8, s0, s1, v10
	v_add_co_ci_u32_e64 v9, s0, s4, v11, s0
	ds_read_b128 v[0:3], v85 offset:2880
	ds_read_b128 v[4:7], v12 offset:20160
	global_load_dwordx4 v[8:11], v[8:9], off
	s_waitcnt lgkmcnt(0)
	v_add_f64 v[21:22], v[0:1], -v[4:5]
	v_add_f64 v[23:24], v[2:3], v[6:7]
	v_add_f64 v[2:3], v[2:3], -v[6:7]
	v_add_f64 v[0:1], v[0:1], v[4:5]
	v_mul_f64 v[6:7], v[21:22], 0.5
	v_mul_f64 v[21:22], v[23:24], 0.5
	v_mul_f64 v[2:3], v[2:3], 0.5
	s_waitcnt vmcnt(2)
	v_mul_f64 v[4:5], v[6:7], v[15:16]
	v_fma_f64 v[23:24], v[21:22], v[15:16], v[2:3]
	v_fma_f64 v[2:3], v[21:22], v[15:16], -v[2:3]
	v_fma_f64 v[15:16], v[0:1], 0.5, v[4:5]
	v_fma_f64 v[0:1], v[0:1], 0.5, -v[4:5]
	v_fma_f64 v[4:5], -v[13:14], v[6:7], v[23:24]
	v_fma_f64 v[2:3], -v[13:14], v[6:7], v[2:3]
	v_fma_f64 v[6:7], v[21:22], v[13:14], v[15:16]
	v_fma_f64 v[0:1], -v[21:22], v[13:14], v[0:1]
	v_lshlrev_b64 v[13:14], 4, v[78:79]
	ds_write_b64 v85, v[4:5] offset:2888
	ds_write_b64 v12, v[2:3] offset:20168
	;; [unrolled: 1-line block ×4, first 2 shown]
	v_add_co_u32 v13, s0, s1, v13
	v_add_co_ci_u32_e64 v14, s0, s4, v14, s0
	ds_read_b128 v[0:3], v85 offset:4320
	ds_read_b128 v[4:7], v12 offset:18720
	global_load_dwordx4 v[13:16], v[13:14], off
	s_waitcnt lgkmcnt(0)
	v_add_f64 v[21:22], v[0:1], -v[4:5]
	v_add_f64 v[23:24], v[2:3], v[6:7]
	v_add_f64 v[2:3], v[2:3], -v[6:7]
	v_add_f64 v[0:1], v[0:1], v[4:5]
	v_mul_f64 v[6:7], v[21:22], 0.5
	v_mul_f64 v[21:22], v[23:24], 0.5
	;; [unrolled: 1-line block ×3, first 2 shown]
	s_waitcnt vmcnt(2)
	v_mul_f64 v[4:5], v[6:7], v[19:20]
	v_fma_f64 v[23:24], v[21:22], v[19:20], v[2:3]
	v_fma_f64 v[2:3], v[21:22], v[19:20], -v[2:3]
	v_fma_f64 v[19:20], v[0:1], 0.5, v[4:5]
	v_fma_f64 v[0:1], v[0:1], 0.5, -v[4:5]
	v_fma_f64 v[4:5], -v[17:18], v[6:7], v[23:24]
	v_fma_f64 v[2:3], -v[17:18], v[6:7], v[2:3]
	v_fma_f64 v[6:7], v[21:22], v[17:18], v[19:20]
	v_fma_f64 v[0:1], -v[21:22], v[17:18], v[0:1]
	v_lshlrev_b64 v[17:18], 4, v[76:77]
	v_add_nc_u32_e32 v76, 0x276, v72
	ds_write_b64 v85, v[4:5] offset:4328
	ds_write_b64 v12, v[2:3] offset:18728
	;; [unrolled: 1-line block ×4, first 2 shown]
	v_add_co_u32 v17, s0, s1, v17
	v_add_co_ci_u32_e64 v18, s0, s4, v18, s0
	ds_read_b128 v[0:3], v85 offset:5760
	ds_read_b128 v[4:7], v12 offset:17280
	global_load_dwordx4 v[17:20], v[17:18], off
	s_waitcnt lgkmcnt(0)
	v_add_f64 v[21:22], v[0:1], -v[4:5]
	v_add_f64 v[23:24], v[2:3], v[6:7]
	v_add_f64 v[2:3], v[2:3], -v[6:7]
	v_add_f64 v[0:1], v[0:1], v[4:5]
	v_mul_f64 v[6:7], v[21:22], 0.5
	v_mul_f64 v[21:22], v[23:24], 0.5
	v_mul_f64 v[2:3], v[2:3], 0.5
	s_waitcnt vmcnt(2)
	v_mul_f64 v[4:5], v[6:7], v[10:11]
	v_fma_f64 v[23:24], v[21:22], v[10:11], v[2:3]
	v_fma_f64 v[2:3], v[21:22], v[10:11], -v[2:3]
	v_fma_f64 v[10:11], v[0:1], 0.5, v[4:5]
	v_fma_f64 v[0:1], v[0:1], 0.5, -v[4:5]
	v_fma_f64 v[4:5], -v[8:9], v[6:7], v[23:24]
	v_fma_f64 v[2:3], -v[8:9], v[6:7], v[2:3]
	v_fma_f64 v[6:7], v[21:22], v[8:9], v[10:11]
	v_fma_f64 v[0:1], -v[21:22], v[8:9], v[0:1]
	v_lshlrev_b64 v[8:9], 4, v[76:77]
	ds_write_b64 v85, v[4:5] offset:5768
	ds_write_b64 v12, v[2:3] offset:17288
	;; [unrolled: 1-line block ×4, first 2 shown]
	v_add_co_u32 v8, s0, s1, v8
	v_add_co_ci_u32_e64 v9, s0, s4, v9, s0
	ds_read_b128 v[0:3], v85 offset:7200
	ds_read_b128 v[4:7], v12 offset:15840
	global_load_dwordx4 v[8:11], v[8:9], off
	s_waitcnt lgkmcnt(0)
	v_add_f64 v[21:22], v[0:1], -v[4:5]
	v_add_f64 v[23:24], v[2:3], v[6:7]
	v_add_f64 v[2:3], v[2:3], -v[6:7]
	v_add_f64 v[0:1], v[0:1], v[4:5]
	v_mul_f64 v[6:7], v[21:22], 0.5
	v_mul_f64 v[21:22], v[23:24], 0.5
	;; [unrolled: 1-line block ×3, first 2 shown]
	s_waitcnt vmcnt(2)
	v_mul_f64 v[4:5], v[6:7], v[15:16]
	v_fma_f64 v[23:24], v[21:22], v[15:16], v[2:3]
	v_fma_f64 v[2:3], v[21:22], v[15:16], -v[2:3]
	v_fma_f64 v[15:16], v[0:1], 0.5, v[4:5]
	v_fma_f64 v[0:1], v[0:1], 0.5, -v[4:5]
	v_fma_f64 v[4:5], -v[13:14], v[6:7], v[23:24]
	v_fma_f64 v[2:3], -v[13:14], v[6:7], v[2:3]
	v_fma_f64 v[6:7], v[21:22], v[13:14], v[15:16]
	v_fma_f64 v[0:1], -v[21:22], v[13:14], v[0:1]
	ds_write_b64 v85, v[4:5] offset:7208
	ds_write_b64 v12, v[2:3] offset:15848
	;; [unrolled: 1-line block ×4, first 2 shown]
	ds_read_b128 v[0:3], v117 offset:8640
	ds_read_b128 v[4:7], v12 offset:14400
	s_waitcnt lgkmcnt(0)
	v_add_f64 v[13:14], v[0:1], -v[4:5]
	v_add_f64 v[15:16], v[2:3], v[6:7]
	v_add_f64 v[2:3], v[2:3], -v[6:7]
	v_add_f64 v[0:1], v[0:1], v[4:5]
	v_mul_f64 v[6:7], v[13:14], 0.5
	v_mul_f64 v[13:14], v[15:16], 0.5
	;; [unrolled: 1-line block ×3, first 2 shown]
	s_waitcnt vmcnt(1)
	v_mul_f64 v[4:5], v[6:7], v[19:20]
	v_fma_f64 v[15:16], v[13:14], v[19:20], v[2:3]
	v_fma_f64 v[2:3], v[13:14], v[19:20], -v[2:3]
	v_fma_f64 v[19:20], v[0:1], 0.5, v[4:5]
	v_fma_f64 v[0:1], v[0:1], 0.5, -v[4:5]
	v_fma_f64 v[4:5], -v[17:18], v[6:7], v[15:16]
	v_fma_f64 v[2:3], -v[17:18], v[6:7], v[2:3]
	v_fma_f64 v[6:7], v[13:14], v[17:18], v[19:20]
	v_fma_f64 v[0:1], -v[13:14], v[17:18], v[0:1]
	v_add_nc_u32_e32 v17, 0x2000, v117
	ds_write2_b64 v17, v[6:7], v[4:5] offset0:56 offset1:57
	ds_write_b128 v12, v[0:3] offset:14400
	ds_read_b128 v[0:3], v117 offset:10080
	ds_read_b128 v[4:7], v12 offset:12960
	s_waitcnt lgkmcnt(0)
	v_add_f64 v[13:14], v[0:1], -v[4:5]
	v_add_f64 v[15:16], v[2:3], v[6:7]
	v_add_f64 v[2:3], v[2:3], -v[6:7]
	v_add_f64 v[0:1], v[0:1], v[4:5]
	v_mul_f64 v[6:7], v[13:14], 0.5
	v_mul_f64 v[13:14], v[15:16], 0.5
	;; [unrolled: 1-line block ×3, first 2 shown]
	s_waitcnt vmcnt(0)
	v_mul_f64 v[4:5], v[6:7], v[10:11]
	v_fma_f64 v[15:16], v[13:14], v[10:11], v[2:3]
	v_fma_f64 v[2:3], v[13:14], v[10:11], -v[2:3]
	v_fma_f64 v[10:11], v[0:1], 0.5, v[4:5]
	v_fma_f64 v[0:1], v[0:1], 0.5, -v[4:5]
	v_fma_f64 v[4:5], -v[8:9], v[6:7], v[15:16]
	v_fma_f64 v[2:3], -v[8:9], v[6:7], v[2:3]
	v_fma_f64 v[6:7], v[13:14], v[8:9], v[10:11]
	v_fma_f64 v[0:1], -v[13:14], v[8:9], v[0:1]
	ds_write2_b64 v17, v[6:7], v[4:5] offset0:236 offset1:237
	ds_write_b128 v12, v[0:3] offset:12960
	s_waitcnt lgkmcnt(0)
	s_barrier
	buffer_gl0_inv
	s_and_saveexec_b32 s0, vcc_lo
	s_cbranch_execz .LBB0_30
; %bb.28:
	v_mov_b32_e32 v73, v77
	ds_read_b128 v[2:5], v117
	ds_read_b128 v[6:9], v117 offset:1440
	ds_read_b128 v[10:13], v117 offset:2880
	;; [unrolled: 1-line block ×3, first 2 shown]
	v_add_co_u32 v0, vcc_lo, s2, v74
	v_add_co_ci_u32_e32 v1, vcc_lo, s3, v75, vcc_lo
	v_lshlrev_b64 v[18:19], 4, v[72:73]
	v_add_co_u32 v34, vcc_lo, v0, v18
	v_add_co_ci_u32_e32 v35, vcc_lo, v1, v19, vcc_lo
	v_add_co_u32 v18, vcc_lo, 0x800, v34
	v_add_co_ci_u32_e32 v19, vcc_lo, 0, v35, vcc_lo
	;; [unrolled: 2-line block ×3, first 2 shown]
	s_waitcnt lgkmcnt(3)
	global_store_dwordx4 v[34:35], v[2:5], off
	s_waitcnt lgkmcnt(2)
	global_store_dwordx4 v[34:35], v[6:9], off offset:1440
	s_waitcnt lgkmcnt(1)
	global_store_dwordx4 v[18:19], v[10:13], off offset:832
	;; [unrolled: 2-line block ×3, first 2 shown]
	ds_read_b128 v[2:5], v117 offset:5760
	ds_read_b128 v[6:9], v117 offset:7200
	;; [unrolled: 1-line block ×8, first 2 shown]
	v_add_co_u32 v38, vcc_lo, 0x1800, v34
	v_add_co_ci_u32_e32 v39, vcc_lo, 0, v35, vcc_lo
	v_add_co_u32 v40, vcc_lo, 0x2000, v34
	v_add_co_ci_u32_e32 v41, vcc_lo, 0, v35, vcc_lo
	;; [unrolled: 2-line block ×3, first 2 shown]
	s_waitcnt lgkmcnt(7)
	global_store_dwordx4 v[36:37], v[2:5], off offset:1664
	s_waitcnt lgkmcnt(6)
	global_store_dwordx4 v[38:39], v[6:9], off offset:1056
	;; [unrolled: 2-line block ×5, first 2 shown]
	v_add_co_u32 v18, vcc_lo, 0x3000, v34
	v_add_co_ci_u32_e32 v19, vcc_lo, 0, v35, vcc_lo
	v_add_co_u32 v20, vcc_lo, 0x3800, v34
	ds_read_b128 v[2:5], v117 offset:17280
	ds_read_b128 v[6:9], v117 offset:18720
	;; [unrolled: 1-line block ×4, first 2 shown]
	v_add_co_ci_u32_e32 v21, vcc_lo, 0, v35, vcc_lo
	s_waitcnt lgkmcnt(6)
	global_store_dwordx4 v[18:19], v[22:25], off offset:672
	s_waitcnt lgkmcnt(5)
	global_store_dwordx4 v[20:21], v[26:29], off offset:64
	;; [unrolled: 2-line block ×3, first 2 shown]
	v_add_co_u32 v18, vcc_lo, 0x4000, v34
	v_add_co_ci_u32_e32 v19, vcc_lo, 0, v35, vcc_lo
	v_add_co_u32 v20, vcc_lo, 0x4800, v34
	v_add_co_ci_u32_e32 v21, vcc_lo, 0, v35, vcc_lo
	;; [unrolled: 2-line block ×3, first 2 shown]
	v_cmp_eq_u32_e32 vcc_lo, 0x59, v72
	s_waitcnt lgkmcnt(3)
	global_store_dwordx4 v[18:19], v[2:5], off offset:896
	s_waitcnt lgkmcnt(2)
	global_store_dwordx4 v[20:21], v[6:9], off offset:288
	;; [unrolled: 2-line block ×4, first 2 shown]
	s_and_b32 exec_lo, exec_lo, vcc_lo
	s_cbranch_execz .LBB0_30
; %bb.29:
	v_mov_b32_e32 v2, 0
	v_add_co_u32 v0, vcc_lo, 0x5800, v0
	v_add_co_ci_u32_e32 v1, vcc_lo, 0, v1, vcc_lo
	ds_read_b128 v[2:5], v2 offset:23040
	s_waitcnt lgkmcnt(0)
	global_store_dwordx4 v[0:1], v[2:5], off offset:512
.LBB0_30:
	s_endpgm
	.section	.rodata,"a",@progbits
	.p2align	6, 0x0
	.amdhsa_kernel fft_rtc_fwd_len1440_factors_10_16_3_3_wgs_90_tpt_90_halfLds_dp_ip_CI_unitstride_sbrr_R2C_dirReg
		.amdhsa_group_segment_fixed_size 0
		.amdhsa_private_segment_fixed_size 0
		.amdhsa_kernarg_size 88
		.amdhsa_user_sgpr_count 6
		.amdhsa_user_sgpr_private_segment_buffer 1
		.amdhsa_user_sgpr_dispatch_ptr 0
		.amdhsa_user_sgpr_queue_ptr 0
		.amdhsa_user_sgpr_kernarg_segment_ptr 1
		.amdhsa_user_sgpr_dispatch_id 0
		.amdhsa_user_sgpr_flat_scratch_init 0
		.amdhsa_user_sgpr_private_segment_size 0
		.amdhsa_wavefront_size32 1
		.amdhsa_uses_dynamic_stack 0
		.amdhsa_system_sgpr_private_segment_wavefront_offset 0
		.amdhsa_system_sgpr_workgroup_id_x 1
		.amdhsa_system_sgpr_workgroup_id_y 0
		.amdhsa_system_sgpr_workgroup_id_z 0
		.amdhsa_system_sgpr_workgroup_info 0
		.amdhsa_system_vgpr_workitem_id 0
		.amdhsa_next_free_vgpr 134
		.amdhsa_next_free_sgpr 21
		.amdhsa_reserve_vcc 1
		.amdhsa_reserve_flat_scratch 0
		.amdhsa_float_round_mode_32 0
		.amdhsa_float_round_mode_16_64 0
		.amdhsa_float_denorm_mode_32 3
		.amdhsa_float_denorm_mode_16_64 3
		.amdhsa_dx10_clamp 1
		.amdhsa_ieee_mode 1
		.amdhsa_fp16_overflow 0
		.amdhsa_workgroup_processor_mode 1
		.amdhsa_memory_ordered 1
		.amdhsa_forward_progress 0
		.amdhsa_shared_vgpr_count 0
		.amdhsa_exception_fp_ieee_invalid_op 0
		.amdhsa_exception_fp_denorm_src 0
		.amdhsa_exception_fp_ieee_div_zero 0
		.amdhsa_exception_fp_ieee_overflow 0
		.amdhsa_exception_fp_ieee_underflow 0
		.amdhsa_exception_fp_ieee_inexact 0
		.amdhsa_exception_int_div_zero 0
	.end_amdhsa_kernel
	.text
.Lfunc_end0:
	.size	fft_rtc_fwd_len1440_factors_10_16_3_3_wgs_90_tpt_90_halfLds_dp_ip_CI_unitstride_sbrr_R2C_dirReg, .Lfunc_end0-fft_rtc_fwd_len1440_factors_10_16_3_3_wgs_90_tpt_90_halfLds_dp_ip_CI_unitstride_sbrr_R2C_dirReg
                                        ; -- End function
	.section	.AMDGPU.csdata,"",@progbits
; Kernel info:
; codeLenInByte = 13748
; NumSgprs: 23
; NumVgprs: 134
; ScratchSize: 0
; MemoryBound: 0
; FloatMode: 240
; IeeeMode: 1
; LDSByteSize: 0 bytes/workgroup (compile time only)
; SGPRBlocks: 2
; VGPRBlocks: 16
; NumSGPRsForWavesPerEU: 23
; NumVGPRsForWavesPerEU: 134
; Occupancy: 7
; WaveLimiterHint : 1
; COMPUTE_PGM_RSRC2:SCRATCH_EN: 0
; COMPUTE_PGM_RSRC2:USER_SGPR: 6
; COMPUTE_PGM_RSRC2:TRAP_HANDLER: 0
; COMPUTE_PGM_RSRC2:TGID_X_EN: 1
; COMPUTE_PGM_RSRC2:TGID_Y_EN: 0
; COMPUTE_PGM_RSRC2:TGID_Z_EN: 0
; COMPUTE_PGM_RSRC2:TIDIG_COMP_CNT: 0
	.text
	.p2alignl 6, 3214868480
	.fill 48, 4, 3214868480
	.type	__hip_cuid_c581d86077bd75a,@object ; @__hip_cuid_c581d86077bd75a
	.section	.bss,"aw",@nobits
	.globl	__hip_cuid_c581d86077bd75a
__hip_cuid_c581d86077bd75a:
	.byte	0                               ; 0x0
	.size	__hip_cuid_c581d86077bd75a, 1

	.ident	"AMD clang version 19.0.0git (https://github.com/RadeonOpenCompute/llvm-project roc-6.4.0 25133 c7fe45cf4b819c5991fe208aaa96edf142730f1d)"
	.section	".note.GNU-stack","",@progbits
	.addrsig
	.addrsig_sym __hip_cuid_c581d86077bd75a
	.amdgpu_metadata
---
amdhsa.kernels:
  - .args:
      - .actual_access:  read_only
        .address_space:  global
        .offset:         0
        .size:           8
        .value_kind:     global_buffer
      - .offset:         8
        .size:           8
        .value_kind:     by_value
      - .actual_access:  read_only
        .address_space:  global
        .offset:         16
        .size:           8
        .value_kind:     global_buffer
      - .actual_access:  read_only
        .address_space:  global
        .offset:         24
        .size:           8
        .value_kind:     global_buffer
      - .offset:         32
        .size:           8
        .value_kind:     by_value
      - .actual_access:  read_only
        .address_space:  global
        .offset:         40
        .size:           8
        .value_kind:     global_buffer
      - .actual_access:  read_only
        .address_space:  global
        .offset:         48
        .size:           8
        .value_kind:     global_buffer
      - .offset:         56
        .size:           4
        .value_kind:     by_value
      - .actual_access:  read_only
        .address_space:  global
        .offset:         64
        .size:           8
        .value_kind:     global_buffer
      - .actual_access:  read_only
        .address_space:  global
        .offset:         72
        .size:           8
        .value_kind:     global_buffer
      - .address_space:  global
        .offset:         80
        .size:           8
        .value_kind:     global_buffer
    .group_segment_fixed_size: 0
    .kernarg_segment_align: 8
    .kernarg_segment_size: 88
    .language:       OpenCL C
    .language_version:
      - 2
      - 0
    .max_flat_workgroup_size: 90
    .name:           fft_rtc_fwd_len1440_factors_10_16_3_3_wgs_90_tpt_90_halfLds_dp_ip_CI_unitstride_sbrr_R2C_dirReg
    .private_segment_fixed_size: 0
    .sgpr_count:     23
    .sgpr_spill_count: 0
    .symbol:         fft_rtc_fwd_len1440_factors_10_16_3_3_wgs_90_tpt_90_halfLds_dp_ip_CI_unitstride_sbrr_R2C_dirReg.kd
    .uniform_work_group_size: 1
    .uses_dynamic_stack: false
    .vgpr_count:     134
    .vgpr_spill_count: 0
    .wavefront_size: 32
    .workgroup_processor_mode: 1
amdhsa.target:   amdgcn-amd-amdhsa--gfx1030
amdhsa.version:
  - 1
  - 2
...

	.end_amdgpu_metadata
